;; amdgpu-corpus repo=ROCm/rocFFT kind=compiled arch=gfx1201 opt=O3
	.text
	.amdgcn_target "amdgcn-amd-amdhsa--gfx1201"
	.amdhsa_code_object_version 6
	.protected	bluestein_single_fwd_len1071_dim1_half_op_CI_CI ; -- Begin function bluestein_single_fwd_len1071_dim1_half_op_CI_CI
	.globl	bluestein_single_fwd_len1071_dim1_half_op_CI_CI
	.p2align	8
	.type	bluestein_single_fwd_len1071_dim1_half_op_CI_CI,@function
bluestein_single_fwd_len1071_dim1_half_op_CI_CI: ; @bluestein_single_fwd_len1071_dim1_half_op_CI_CI
; %bb.0:
	s_load_b128 s[4:7], s[0:1], 0x28
	v_mul_u32_u24_e32 v1, 0x227, v0
	s_mov_b32 s2, exec_lo
	v_mov_b32_e32 v17, 0
	s_delay_alu instid0(VALU_DEP_2) | instskip(NEXT) | instid1(VALU_DEP_1)
	v_lshrrev_b32_e32 v1, 16, v1
	v_add_nc_u32_e32 v16, ttmp9, v1
	s_wait_kmcnt 0x0
	s_delay_alu instid0(VALU_DEP_1)
	v_cmpx_gt_u64_e64 s[4:5], v[16:17]
	s_cbranch_execz .LBB0_23
; %bb.1:
	s_clause 0x1
	s_load_b64 s[12:13], s[0:1], 0x0
	s_load_b64 s[14:15], s[0:1], 0x38
	v_mul_lo_u16 v1, 0x77, v1
	s_delay_alu instid0(VALU_DEP_1) | instskip(NEXT) | instid1(VALU_DEP_1)
	v_sub_nc_u16 v0, v0, v1
	v_and_b32_e32 v44, 0xffff, v0
	v_cmp_gt_u16_e32 vcc_lo, 63, v0
	s_delay_alu instid0(VALU_DEP_2)
	v_lshlrev_b32_e32 v43, 2, v44
	s_and_saveexec_b32 s3, vcc_lo
	s_cbranch_execz .LBB0_3
; %bb.2:
	s_load_b64 s[4:5], s[0:1], 0x18
	s_delay_alu instid0(VALU_DEP_1)
	v_add_nc_u32_e32 v37, 0x600, v43
	v_add_nc_u32_e32 v38, 0x800, v43
	s_wait_kmcnt 0x0
	s_load_b128 s[8:11], s[4:5], 0x0
	s_wait_kmcnt 0x0
	v_mad_co_u64_u32 v[0:1], null, s10, v16, 0
	v_mad_co_u64_u32 v[2:3], null, s8, v44, 0
	s_mul_u64 s[4:5], s[8:9], 0xfc
	s_delay_alu instid0(VALU_DEP_1) | instskip(NEXT) | instid1(VALU_DEP_2)
	v_mad_co_u64_u32 v[4:5], null, s11, v16, v[1:2]
	v_mov_b32_e32 v1, v3
	s_delay_alu instid0(VALU_DEP_1) | instskip(NEXT) | instid1(VALU_DEP_3)
	v_mad_co_u64_u32 v[5:6], null, s9, v44, v[1:2]
	v_mov_b32_e32 v1, v4
	s_clause 0x7
	global_load_b32 v4, v43, s[12:13]
	global_load_b32 v6, v43, s[12:13] offset:252
	global_load_b32 v7, v43, s[12:13] offset:504
	;; [unrolled: 1-line block ×7, first 2 shown]
	v_lshlrev_b64_e32 v[0:1], 2, v[0:1]
	v_mov_b32_e32 v3, v5
	s_clause 0x8
	global_load_b32 v5, v43, s[12:13] offset:2016
	global_load_b32 v13, v43, s[12:13] offset:2268
	;; [unrolled: 1-line block ×9, first 2 shown]
	v_lshlrev_b64_e32 v[2:3], 2, v[2:3]
	v_add_co_u32 v0, s2, s6, v0
	s_delay_alu instid0(VALU_DEP_1) | instskip(NEXT) | instid1(VALU_DEP_2)
	v_add_co_ci_u32_e64 v1, s2, s7, v1, s2
	v_add_co_u32 v0, s2, v0, v2
	s_wait_alu 0xf1ff
	s_delay_alu instid0(VALU_DEP_2) | instskip(SKIP_1) | instid1(VALU_DEP_2)
	v_add_co_ci_u32_e64 v1, s2, v1, v3, s2
	s_wait_alu 0xfffe
	v_add_co_u32 v2, s2, v0, s4
	s_wait_alu 0xf1ff
	s_delay_alu instid0(VALU_DEP_2)
	v_add_co_ci_u32_e64 v3, s2, s5, v1, s2
	s_clause 0x1
	global_load_b32 v22, v[0:1], off
	global_load_b32 v23, v[2:3], off
	v_add_co_u32 v0, s2, v2, s4
	s_wait_alu 0xf1ff
	v_add_co_ci_u32_e64 v1, s2, s5, v3, s2
	s_delay_alu instid0(VALU_DEP_2) | instskip(SKIP_1) | instid1(VALU_DEP_2)
	v_add_co_u32 v2, s2, v0, s4
	s_wait_alu 0xf1ff
	v_add_co_ci_u32_e64 v3, s2, s5, v1, s2
	s_clause 0x1
	global_load_b32 v24, v[0:1], off
	global_load_b32 v25, v[2:3], off
	v_add_co_u32 v0, s2, v2, s4
	s_wait_alu 0xf1ff
	v_add_co_ci_u32_e64 v1, s2, s5, v3, s2
	s_delay_alu instid0(VALU_DEP_2) | instskip(SKIP_1) | instid1(VALU_DEP_2)
	v_add_co_u32 v2, s2, v0, s4
	s_wait_alu 0xf1ff
	v_add_co_ci_u32_e64 v3, s2, s5, v1, s2
	global_load_b32 v26, v[0:1], off
	global_load_b32 v27, v[2:3], off
	v_add_co_u32 v0, s2, v2, s4
	s_wait_alu 0xf1ff
	v_add_co_ci_u32_e64 v1, s2, s5, v3, s2
	s_delay_alu instid0(VALU_DEP_2) | instskip(SKIP_1) | instid1(VALU_DEP_2)
	v_add_co_u32 v2, s2, v0, s4
	s_wait_alu 0xf1ff
	v_add_co_ci_u32_e64 v3, s2, s5, v1, s2
	global_load_b32 v28, v[0:1], off
	v_add_co_u32 v0, s2, v2, s4
	s_wait_alu 0xf1ff
	v_add_co_ci_u32_e64 v1, s2, s5, v3, s2
	global_load_b32 v29, v[2:3], off
	global_load_b32 v30, v[0:1], off
	v_add_co_u32 v0, s2, v0, s4
	s_wait_alu 0xf1ff
	v_add_co_ci_u32_e64 v1, s2, s5, v1, s2
	s_delay_alu instid0(VALU_DEP_2) | instskip(SKIP_1) | instid1(VALU_DEP_2)
	v_add_co_u32 v2, s2, v0, s4
	s_wait_alu 0xf1ff
	v_add_co_ci_u32_e64 v3, s2, s5, v1, s2
	global_load_b32 v31, v[0:1], off
	;; [unrolled: 13-line block ×3, first 2 shown]
	v_add_co_u32 v0, s2, v2, s4
	s_wait_alu 0xf1ff
	v_add_co_ci_u32_e64 v1, s2, s5, v3, s2
	global_load_b32 v35, v[2:3], off
	v_add_co_u32 v2, s2, v0, s4
	s_wait_alu 0xf1ff
	v_add_co_ci_u32_e64 v3, s2, s5, v1, s2
	global_load_b32 v36, v[0:1], off
	;; [unrolled: 4-line block ×3, first 2 shown]
	global_load_b32 v0, v[0:1], off
	v_add_nc_u32_e32 v1, 0x200, v43
	v_add_nc_u32_e32 v3, 0x400, v43
	s_wait_loadcnt 0x21
	v_lshrrev_b32_e32 v39, 16, v4
	s_wait_loadcnt 0x20
	v_lshrrev_b32_e32 v40, 16, v6
	;; [unrolled: 2-line block ×18, first 2 shown]
	v_mul_f16_e32 v58, v39, v22
	s_wait_loadcnt 0xf
	v_lshrrev_b32_e32 v59, 16, v23
	v_mul_f16_e32 v61, v40, v23
	v_mul_f16_e32 v39, v39, v54
	v_fma_f16 v54, v4, v54, -v58
	s_delay_alu instid0(VALU_DEP_2)
	v_fmac_f16_e32 v39, v4, v22
	v_mul_f16_e32 v4, v40, v59
	v_fma_f16 v40, v6, v59, -v61
	s_wait_loadcnt 0xe
	v_lshrrev_b32_e32 v22, 16, v24
	v_mul_f16_e32 v58, v41, v24
	v_fmac_f16_e32 v4, v6, v23
	s_wait_loadcnt 0xd
	v_lshrrev_b32_e32 v23, 16, v25
	v_pack_b32_f16 v39, v39, v54
	v_mul_f16_e32 v6, v41, v22
	v_mul_f16_e32 v41, v42, v25
	v_fma_f16 v22, v7, v22, -v58
	v_pack_b32_f16 v4, v4, v40
	s_delay_alu instid0(VALU_DEP_4)
	v_fmac_f16_e32 v6, v7, v24
	v_mul_f16_e32 v7, v42, v23
	s_wait_loadcnt 0xc
	v_lshrrev_b32_e32 v24, 16, v26
	v_fma_f16 v23, v8, v23, -v41
	v_mul_f16_e32 v40, v45, v26
	ds_store_2addr_b32 v43, v39, v4 offset1:63
	v_pack_b32_f16 v4, v6, v22
	v_fmac_f16_e32 v7, v8, v25
	v_mul_f16_e32 v6, v45, v24
	s_wait_loadcnt 0xb
	v_lshrrev_b32_e32 v8, 16, v27
	v_mul_f16_e32 v22, v46, v27
	v_fma_f16 v24, v9, v24, -v40
	v_pack_b32_f16 v7, v7, v23
	v_fmac_f16_e32 v6, v9, v26
	v_mul_f16_e32 v9, v46, v8
	v_fma_f16 v8, v10, v8, -v22
	s_wait_loadcnt 0xa
	v_lshrrev_b32_e32 v22, 16, v28
	v_mul_f16_e32 v23, v47, v28
	ds_store_2addr_b32 v43, v4, v7 offset0:126 offset1:189
	v_pack_b32_f16 v4, v6, v24
	v_fmac_f16_e32 v9, v10, v27
	v_mul_f16_e32 v6, v47, v22
	s_wait_loadcnt 0x9
	v_lshrrev_b32_e32 v7, 16, v29
	v_mul_f16_e32 v10, v48, v29
	v_fma_f16 v22, v11, v22, -v23
	v_pack_b32_f16 v8, v9, v8
	v_fmac_f16_e32 v6, v11, v28
	v_mul_f16_e32 v9, v48, v7
	v_fma_f16 v7, v12, v7, -v10
	s_wait_loadcnt 0x8
	v_lshrrev_b32_e32 v10, 16, v30
	v_mul_f16_e32 v11, v49, v30
	ds_store_2addr_b32 v1, v4, v8 offset0:124 offset1:187
	;; [unrolled: 15-line block ×3, first 2 shown]
	v_pack_b32_f16 v1, v4, v10
	v_fmac_f16_e32 v5, v13, v31
	s_wait_loadcnt 0x5
	v_lshrrev_b32_e32 v4, 16, v33
	v_mul_f16_e32 v3, v51, v8
	v_fma_f16 v7, v14, v8, -v9
	v_mul_f16_e32 v8, v52, v33
	v_pack_b32_f16 v5, v5, v6
	v_mul_f16_e32 v6, v52, v4
	v_fmac_f16_e32 v3, v14, v32
	s_wait_loadcnt 0x4
	v_lshrrev_b32_e32 v9, 16, v34
	v_fma_f16 v4, v15, v4, -v8
	v_mul_f16_e32 v8, v53, v34
	v_fmac_f16_e32 v6, v15, v33
	s_wait_loadcnt 0x3
	v_lshrrev_b32_e32 v10, 16, v35
	v_pack_b32_f16 v3, v3, v7
	v_mul_f16_e32 v7, v53, v9
	v_fma_f16 v8, v17, v9, -v8
	v_mul_f16_e32 v9, v55, v35
	v_pack_b32_f16 v4, v6, v4
	v_mul_f16_e32 v6, v55, v10
	v_fmac_f16_e32 v7, v17, v34
	s_wait_loadcnt 0x2
	v_lshrrev_b32_e32 v11, 16, v36
	v_fma_f16 v9, v18, v10, -v9
	v_mul_f16_e32 v10, v56, v36
	v_fmac_f16_e32 v6, v18, v35
	s_wait_loadcnt 0x1
	v_lshrrev_b32_e32 v12, 16, v2
	s_wait_loadcnt 0x0
	v_lshrrev_b32_e32 v13, 16, v0
	v_pack_b32_f16 v7, v7, v8
	v_mul_f16_e32 v8, v56, v11
	v_fma_f16 v10, v19, v11, -v10
	v_mul_f16_e32 v11, v57, v2
	v_pack_b32_f16 v6, v6, v9
	v_mul_f16_e32 v9, v57, v12
	v_mul_f16_e32 v14, v60, v13
	;; [unrolled: 1-line block ×3, first 2 shown]
	v_fmac_f16_e32 v8, v19, v36
	v_fma_f16 v11, v20, v12, -v11
	v_fmac_f16_e32 v9, v20, v2
	v_fmac_f16_e32 v14, v21, v0
	v_fma_f16 v0, v21, v13, -v15
	v_add_nc_u32_e32 v2, 0xa00, v43
	v_pack_b32_f16 v8, v8, v10
	v_pack_b32_f16 v9, v9, v11
	v_add_nc_u32_e32 v10, 0xc00, v43
	v_pack_b32_f16 v0, v14, v0
	ds_store_2addr_b32 v37, v1, v5 offset0:120 offset1:183
	ds_store_2addr_b32 v38, v3, v4 offset0:118 offset1:181
	;; [unrolled: 1-line block ×4, first 2 shown]
	ds_store_b32 v43, v0 offset:4032
.LBB0_3:
	s_or_b32 exec_lo, exec_lo, s3
	v_mov_b32_e32 v0, 0
	global_wb scope:SCOPE_SE
	s_wait_dscnt 0x0
	s_wait_kmcnt 0x0
	s_barrier_signal -1
	s_barrier_wait -1
	global_inv scope:SCOPE_SE
                                        ; implicit-def: $vgpr9
                                        ; implicit-def: $vgpr6
                                        ; implicit-def: $vgpr11
                                        ; implicit-def: $vgpr4
                                        ; implicit-def: $vgpr13
                                        ; implicit-def: $vgpr2
                                        ; implicit-def: $vgpr15
                                        ; implicit-def: $vgpr19
	s_and_saveexec_b32 s2, vcc_lo
	s_cbranch_execz .LBB0_5
; %bb.4:
	v_add_nc_u32_e32 v2, 0x200, v43
	v_add_nc_u32_e32 v3, 0x400, v43
	;; [unrolled: 1-line block ×3, first 2 shown]
	ds_load_2addr_b32 v[0:1], v43 offset1:63
	ds_load_2addr_b32 v[14:15], v43 offset0:126 offset1:189
	v_add_nc_u32_e32 v5, 0xa00, v43
	ds_load_2addr_b32 v[12:13], v2 offset0:124 offset1:187
	v_add_nc_u32_e32 v2, 0x800, v43
	v_add_nc_u32_e32 v17, 0xc00, v43
	ds_load_2addr_b32 v[10:11], v3 offset0:122 offset1:185
	ds_load_2addr_b32 v[8:9], v4 offset0:120 offset1:183
	;; [unrolled: 1-line block ×5, first 2 shown]
	ds_load_b32 v19, v43 offset:4032
.LBB0_5:
	s_wait_alu 0xfffe
	s_or_b32 exec_lo, exec_lo, s2
	s_wait_dscnt 0x0
	v_pk_add_f16 v40, v1, v19 neg_lo:[0,1] neg_hi:[0,1]
	v_pk_add_f16 v65, v14, v3 neg_lo:[0,1] neg_hi:[0,1]
	v_pk_add_f16 v51, v19, v1
	v_pk_add_f16 v48, v15, v2 neg_lo:[0,1] neg_hi:[0,1]
	v_pk_add_f16 v50, v3, v14
	v_lshrrev_b32_e32 v86, 16, v40
	v_lshrrev_b32_e32 v82, 16, v65
	v_pk_add_f16 v46, v12, v5 neg_lo:[0,1] neg_hi:[0,1]
	v_lshrrev_b32_e32 v68, 16, v48
	v_pk_add_f16 v52, v2, v15
	v_mul_f16_e32 v22, 0xb964, v86
	v_mul_f16_e32 v36, 0xbbb2, v86
	v_mul_f16_e32 v20, 0xbbf7, v82
	v_mul_f16_e32 v42, 0xba62, v86
	v_mul_f16_e32 v17, 0xb836, v86
	v_fmamk_f16 v18, v51, 0x39e9, v22
	v_fmamk_f16 v24, v51, 0xb461, v36
	;; [unrolled: 1-line block ×3, first 2 shown]
	v_mul_f16_e32 v37, 0x3836, v82
	v_mul_f16_e32 v21, 0xba62, v68
	v_lshrrev_b32_e32 v66, 16, v46
	v_pk_add_f16 v45, v13, v4 neg_lo:[0,1] neg_hi:[0,1]
	v_add_f16_e32 v18, v18, v0
	v_fmamk_f16 v25, v51, 0xb8d2, v42
	v_fma_f16 v67, v51, 0xbacd, -v17
	v_fmac_f16_e32 v17, 0xbacd, v51
	v_mul_f16_e32 v55, 0x3bb2, v82
	v_mul_f16_e32 v39, 0x3b29, v82
	v_fmamk_f16 v62, v50, 0xbacd, v37
	v_mul_f16_e32 v41, 0x3964, v68
	v_fmamk_f16 v72, v52, 0xb8d2, v21
	v_pk_add_f16 v53, v5, v12
	v_mul_f16_e32 v28, 0xb1e1, v66
	v_lshrrev_b32_e32 v49, 16, v45
	v_add_f16_e32 v18, v26, v18
	v_add_f16_e32 v24, v24, v0
	v_fmamk_f16 v71, v50, 0xb461, v55
	v_fma_f16 v81, v50, 0x3722, -v39
	v_fmac_f16_e32 v39, 0x3722, v50
	v_mul_f16_e32 v61, 0xb5c8, v68
	v_fmamk_f16 v74, v52, 0x39e9, v41
	v_mul_f16_e32 v77, 0xbbf7, v68
	v_fmamk_f16 v78, v53, 0xbbdd, v28
	v_mul_f16_e32 v54, 0xbb29, v66
	v_pk_add_f16 v56, v4, v13
	v_mul_f16_e32 v30, 0x3836, v49
	v_add_f16_e32 v25, v25, v0
	v_add_f16_e32 v17, v17, v0
	;; [unrolled: 1-line block ×4, first 2 shown]
	v_mul_f16_e32 v29, 0xbb29, v86
	v_fmamk_f16 v76, v52, 0x3b76, v61
	v_fma_f16 v87, v52, 0x2de8, -v77
	v_fmac_f16_e32 v77, 0x2de8, v52
	v_mul_f16_e32 v63, 0xb836, v66
	v_mul_f16_e32 v84, 0x3a62, v66
	v_fmamk_f16 v83, v53, 0x3722, v54
	v_fmamk_f16 v88, v56, 0xbacd, v30
	v_pk_add_f16 v27, v10, v7 neg_lo:[0,1] neg_hi:[0,1]
	v_mul_f16_e32 v57, 0xb1e1, v49
	v_add_f16_e32 v25, v71, v25
	v_add_f16_e32 v17, v39, v17
	;; [unrolled: 1-line block ×4, first 2 shown]
	v_fmamk_f16 v23, v51, 0x3722, v29
	v_mul_f16_e32 v31, 0xba62, v82
	v_fmamk_f16 v85, v53, 0xbacd, v63
	v_fma_f16 v70, v53, 0xb8d2, -v84
	v_fmac_f16_e32 v84, 0xb8d2, v53
	v_mul_f16_e32 v64, 0x3bf7, v49
	v_mul_f16_e32 v89, 0xb5c8, v49
	v_lshrrev_b32_e32 v47, 16, v27
	v_fmamk_f16 v91, v56, 0xbbdd, v57
	v_pk_add_f16 v109, v11, v6 neg_lo:[0,1] neg_hi:[0,1]
	v_add_f16_e32 v25, v76, v25
	v_add_f16_e32 v17, v77, v17
	;; [unrolled: 1-line block ×4, first 2 shown]
	v_pk_mul_f16 v88, 0xb1e1, v40 op_sel_hi:[0,1]
	v_fmamk_f16 v59, v50, 0xb8d2, v31
	v_mul_f16_e32 v33, 0x31e1, v68
	v_fmamk_f16 v92, v56, 0x2de8, v64
	v_fma_f16 v69, v56, 0x3b76, -v89
	v_pk_add_f16 v58, v7, v10
	v_mul_f16_e32 v32, 0x3bb2, v47
	v_fmac_f16_e32 v89, 0x3b76, v56
	v_add_f16_e32 v23, v23, v0
	v_mul_f16_e32 v80, 0xb964, v47
	v_lshrrev_b32_e32 v111, 16, v109
	v_add_f16_e32 v25, v85, v25
	v_add_f16_e32 v17, v84, v17
	;; [unrolled: 1-line block ×3, first 2 shown]
	v_pk_fma_f16 v84, 0xbbdd, v51, v88 op_sel:[0,0,1] op_sel_hi:[0,1,0]
	v_pk_mul_f16 v91, 0x35c8, v65 op_sel_hi:[0,1]
	v_fmamk_f16 v73, v52, 0xbbdd, v33
	v_mul_f16_e32 v34, 0x3bb2, v66
	v_fmamk_f16 v93, v58, 0xb461, v32
	v_add_f16_e32 v23, v59, v23
	v_fmamk_f16 v96, v58, 0x39e9, v80
	v_pk_add_f16 v75, v6, v11
	v_mul_f16_e32 v39, 0x3b29, v111
	v_add_f16_e32 v25, v92, v25
	v_add_f16_e32 v17, v89, v17
	v_pk_add_f16 v85, v84, v0
	v_pk_fma_f16 v89, 0x3b76, v50, v91 op_sel:[0,0,1] op_sel_hi:[0,1,0]
	v_pk_mul_f16 v92, 0xb836, v48 op_sel_hi:[0,1]
	v_fmamk_f16 v79, v53, 0xb461, v34
	v_mul_f16_e32 v35, 0x3964, v49
	v_add_f16_e32 v23, v73, v23
	v_fmamk_f16 v72, v75, 0x3722, v39
	v_add_f16_e32 v18, v93, v18
	v_add_f16_e32 v25, v96, v25
	v_pk_add_f16 v85, v89, v85
	v_pk_fma_f16 v89, 0xbacd, v52, v92 op_sel:[0,0,1] op_sel_hi:[0,1,0]
	v_pk_mul_f16 v96, 0x3964, v46 op_sel_hi:[0,1]
	v_fmamk_f16 v90, v56, 0x39e9, v35
	v_mul_f16_e32 v38, 0xb5c8, v47
	v_mul_f16_e32 v60, 0x3bf7, v47
	v_add_f16_e32 v23, v79, v23
	v_mul_f16_e32 v83, 0xb1e1, v111
	v_pk_add_f16 v115, v8, v9 neg_lo:[0,1] neg_hi:[0,1]
	v_add_f16_e32 v18, v72, v18
	v_pk_add_f16 v72, v89, v85
	v_pk_fma_f16 v85, 0x39e9, v53, v96 op_sel:[0,0,1] op_sel_hi:[0,1,0]
	v_pk_mul_f16 v104, 0xba62, v45 op_sel_hi:[0,1]
	v_fmamk_f16 v94, v58, 0x3b76, v38
	v_fmamk_f16 v95, v58, 0x2de8, v60
	v_mul_f16_e32 v26, 0xb1e1, v47
	v_mul_f16_e32 v62, 0xbbf7, v111
	;; [unrolled: 1-line block ×3, first 2 shown]
	v_fmamk_f16 v77, v75, 0xbbdd, v83
	v_add_f16_e32 v23, v90, v23
	v_lshrrev_b32_e32 v123, 16, v115
	v_pk_add_f16 v72, v85, v72
	v_pk_fma_f16 v85, 0xb8d2, v56, v104 op_sel:[0,0,1] op_sel_hi:[0,1,0]
	v_pk_mul_f16 v112, 0x3b29, v27 op_sel_hi:[0,1]
	v_fma_f16 v102, v58, 0xbbdd, -v26
	v_fmac_f16_e32 v26, 0xbbdd, v58
	v_fmamk_f16 v74, v75, 0x2de8, v62
	v_fmamk_f16 v76, v75, 0x3b76, v73
	v_mul_f16_e32 v78, 0x3964, v111
	v_pk_add_f16 v79, v9, v8
	v_add_f16_e32 v23, v94, v23
	v_mul_f16_e32 v71, 0xb836, v123
	v_add_f16_e32 v24, v95, v24
	v_mul_f16_e32 v97, 0x3b29, v123
	v_add_f16_e32 v25, v77, v25
	v_pk_add_f16 v72, v85, v72
	v_pk_fma_f16 v77, 0x3722, v58, v112 op_sel:[0,0,1] op_sel_hi:[0,1,0]
	v_pk_mul_f16 v134, 0xbbb2, v109 op_sel_hi:[0,1]
	v_fma_f16 v122, v75, 0x39e9, -v78
	v_mul_f16_e32 v84, 0xba62, v123
	v_add_f16_e32 v26, v26, v17
	v_fmamk_f16 v17, v79, 0xbacd, v71
	v_add_f16_e32 v23, v74, v23
	v_add_f16_e32 v24, v76, v24
	v_fmamk_f16 v76, v79, 0x3722, v97
	v_fmac_f16_e32 v78, 0x39e9, v75
	v_pk_add_f16 v72, v77, v72
	v_pk_fma_f16 v77, 0xb461, v75, v134 op_sel:[0,0,1] op_sel_hi:[0,1,0]
	v_mul_f16_e32 v85, 0xbbb2, v123
	v_mul_f16_e32 v59, 0x35c8, v123
	v_fmamk_f16 v74, v79, 0xb8d2, v84
	v_add_f16_e32 v17, v17, v23
	v_add_f16_e32 v23, v76, v25
	;; [unrolled: 1-line block ×3, first 2 shown]
	v_pk_add_f16 v89, v77, v72
	v_fma_f16 v153, v79, 0xb461, -v85
	v_fmac_f16_e32 v85, 0xb461, v79
	v_mul_f16_e32 v72, 0xb5c8, v86
	v_fmamk_f16 v90, v79, 0x3b76, v59
	v_add_f16_e32 v24, v74, v24
	v_lshrrev_b32_e32 v119, 16, v51
	v_mul_f16_e32 v76, 0xb5c8, v40
	v_add_f16_e32 v26, v85, v25
	v_fmamk_f16 v85, v51, 0x3b76, v72
	v_mul_f16_e32 v74, 0xb964, v82
	v_add_f16_e32 v18, v90, v18
	v_pk_mul_f16 v154, 0x3bf7, v115 op_sel_hi:[0,1]
	v_fma_f16 v90, v119, 0x3b76, -v76
	v_lshrrev_b32_e32 v78, 16, v0
	v_lshrrev_b32_e32 v116, 16, v50
	v_mul_f16_e32 v77, 0xb964, v65
	v_add_f16_e32 v93, v85, v0
	v_mul_f16_e32 v85, 0xb964, v40
	v_fmamk_f16 v94, v50, 0x39e9, v74
	v_pk_fma_f16 v25, 0x2de8, v79, v154 op_sel:[0,0,1] op_sel_hi:[0,1,0]
	v_add_f16_e32 v90, v90, v78
	v_fma_f16 v95, v116, 0x39e9, -v77
	v_fma_f16 v98, v119, 0x39e9, -v85
	v_add_f16_e32 v100, v94, v93
	v_mul_f16_e32 v94, 0xbbf7, v86
	v_mul_f16_e32 v86, 0xbbf7, v65
	v_pk_add_f16 v25, v25, v89
	v_mul_f16_e32 v89, 0xbb29, v40
	v_add_f16_e32 v105, v95, v90
	v_add_f16_e32 v93, v98, v78
	v_mul_f16_e32 v95, 0xb1e1, v82
	v_fma_f16 v82, v116, 0x2de8, -v86
	v_mul_f16_e32 v117, 0xbbb2, v40
	v_fma_f16 v98, v119, 0x3722, -v89
	v_mul_f16_e32 v90, 0xba62, v65
	v_mul_f16_e32 v118, 0x3836, v65
	v_add_f16_e32 v107, v82, v93
	v_fma_f16 v93, v119, 0xb461, -v117
	v_fmamk_f16 v99, v51, 0x2de8, v94
	v_add_f16_e32 v98, v98, v78
	v_fma_f16 v103, v116, 0xb8d2, -v90
	v_mul_f16_e32 v101, 0xbbf7, v40
	v_mul_f16_e64 v131, 0xba62, v40
	v_add_f16_e32 v93, v93, v78
	v_fma_f16 v108, v116, 0xbacd, -v118
	v_mul_f16_e32 v40, 0xb836, v40
	v_add_f16_e32 v99, v99, v0
	v_fmamk_f16 v106, v50, 0xbbdd, v95
	v_add_f16_e32 v98, v103, v98
	v_fma_f16 v82, v119, 0x2de8, -v101
	v_mul_f16_e32 v103, 0xb1e1, v65
	v_mul_f16_e64 v133, 0x3bb2, v65
	v_add_f16_e32 v120, v108, v93
	v_fmamk_f16 v93, v119, 0xbacd, v40
	v_mul_f16_e32 v65, 0x3b29, v65
	v_add_f16_e32 v106, v106, v99
	v_add_f16_e32 v82, v82, v78
	v_fma_f16 v99, v116, 0xbbdd, -v103
	v_fma_f16 v110, v119, 0xb8d2, -v131
	;; [unrolled: 1-line block ×3, first 2 shown]
	v_add_f16_e32 v67, v67, v0
	v_add_f16_e32 v93, v93, v78
	v_fmamk_f16 v108, v116, 0x3722, v65
	v_add_f16_e32 v114, v99, v82
	v_add_f16_e32 v82, v110, v78
	v_fma_f16 v99, v116, 0xb461, -v133
	v_fma_f16 v65, v116, 0x3722, -v65
	v_add_f16_e32 v40, v40, v78
	v_pk_fma_f16 v88, 0xbbdd, v51, v88 op_sel:[0,0,1] op_sel_hi:[0,1,0] neg_lo:[0,0,1] neg_hi:[0,0,1]
	v_add_f16_e32 v67, v81, v67
	v_add_f16_e32 v121, v108, v93
	v_mul_f16_e32 v81, 0xbb29, v68
	v_lshrrev_b32_e32 v125, 16, v52
	v_mul_f16_e32 v93, 0xba62, v48
	v_add_f16_e32 v110, v99, v82
	v_add_f16_e32 v40, v65, v40
	v_pk_add_f16 v65, v88, v0
	v_pk_fma_f16 v88, 0x3b76, v50, v91 op_sel:[0,0,1] op_sel_hi:[0,1,0] neg_lo:[0,0,1] neg_hi:[0,0,1]
	v_mul_f16_e32 v82, 0xbb29, v48
	v_fmamk_f16 v91, v52, 0x3722, v81
	v_mul_f16_e32 v99, 0x31e1, v48
	v_fma_f16 v113, v125, 0xb8d2, -v93
	v_pk_add_f16 v65, v88, v65
	v_fma_f16 v88, v125, 0x3722, -v82
	v_add_f16_e32 v91, v91, v100
	v_fma_f16 v100, v125, 0xbbdd, -v99
	v_mul_f16_e32 v108, 0x3bb2, v68
	v_add_f16_e32 v107, v113, v107
	v_mul_f16_e32 v113, 0x3bb2, v48
	v_add_f16_e32 v68, v88, v105
	v_add_f16_e32 v98, v100, v98
	v_fmamk_f16 v88, v52, 0xb461, v108
	v_mul_f16_e64 v128, 0x3964, v48
	v_mul_f16_e64 v140, 0xb5c8, v48
	v_fma_f16 v100, v125, 0xb461, -v113
	v_mul_f16_e32 v48, 0xbbf7, v48
	v_add_f16_e32 v106, v88, v106
	v_fma_f16 v88, v125, 0x39e9, -v128
	v_fma_f16 v105, v125, 0x3b76, -v140
	v_add_f16_e32 v124, v100, v114
	v_fmamk_f16 v100, v125, 0x2de8, v48
	v_fma_f16 v48, v125, 0x2de8, -v48
	v_add_f16_e32 v67, v87, v67
	v_mul_f16_e32 v87, 0xbbf7, v66
	v_add_f16_e32 v126, v88, v120
	v_add_f16_e32 v110, v105, v110
	;; [unrolled: 1-line block ×4, first 2 shown]
	v_pk_fma_f16 v48, 0xbacd, v52, v92 op_sel:[0,0,1] op_sel_hi:[0,1,0] neg_lo:[0,0,1] neg_hi:[0,0,1]
	v_lshrrev_b32_e32 v130, 16, v53
	v_mul_f16_e32 v88, 0xbbf7, v46
	v_mul_f16_e32 v100, 0xb1e1, v46
	v_fmamk_f16 v92, v53, 0x2de8, v87
	v_mul_f16_e32 v105, 0x3bb2, v46
	v_pk_add_f16 v48, v48, v65
	v_fma_f16 v65, v130, 0x2de8, -v88
	v_fma_f16 v120, v130, 0xbbdd, -v100
	v_add_f16_e32 v127, v92, v91
	v_fma_f16 v91, v130, 0xb461, -v105
	v_mul_f16_e32 v114, 0x35c8, v66
	v_add_f16_e32 v65, v65, v68
	v_add_f16_e32 v66, v120, v107
	v_mul_f16_e32 v120, 0x35c8, v46
	v_add_f16_e32 v68, v91, v98
	v_fmamk_f16 v91, v53, 0x3b76, v114
	v_mul_f16_e64 v137, 0xbb29, v46
	v_mul_f16_e64 v145, 0xb836, v46
	v_fma_f16 v92, v130, 0x3b76, -v120
	v_mul_f16_e32 v46, 0x3a62, v46
	v_add_f16_e32 v98, v91, v106
	v_fma_f16 v91, v130, 0x3722, -v137
	v_fma_f16 v106, v130, 0xbacd, -v145
	v_add_f16_e64 v129, v92, v124
	v_fma_f16 v92, 0xb8d2, v130, v46
	v_fma_f16 v46, v130, 0xb8d2, -v46
	v_add_f16_e64 v132, v91, v126
	v_mul_f16_e32 v91, 0xbbb2, v49
	v_lshrrev_b32_e32 v135, 16, v56
	v_mul_f16_e32 v107, 0x3836, v45
	v_add_f16_e32 v106, v106, v110
	v_add_f16_e32 v67, v70, v67
	;; [unrolled: 1-line block ×4, first 2 shown]
	v_pk_fma_f16 v46, 0x39e9, v53, v96 op_sel:[0,0,1] op_sel_hi:[0,1,0] neg_lo:[0,0,1] neg_hi:[0,0,1]
	v_mul_f16_e32 v92, 0xbbb2, v45
	v_fmamk_f16 v96, v56, 0xb461, v91
	v_mul_f16_e32 v110, 0x3964, v45
	v_fma_f16 v121, v135, 0xbacd, -v107
	v_mul_f16_e32 v124, 0xbb29, v49
	v_pk_add_f16 v46, v46, v48
	v_fma_f16 v48, v135, 0xb461, -v92
	v_add_f16_e32 v127, v96, v127
	v_fma_f16 v96, v135, 0x39e9, -v110
	v_add_f16_e32 v49, v121, v66
	v_fmamk_f16 v66, v56, 0x3722, v124
	v_mul_f16_e64 v141, 0xb1e1, v45
	v_mul_f16_e64 v148, 0x3bf7, v45
	v_add_f16_e32 v48, v48, v65
	v_mul_f16_e32 v126, 0xbb29, v45
	v_add_f16_e32 v65, v96, v68
	v_mul_f16_e32 v45, 0xb5c8, v45
	v_add_f16_e32 v66, v66, v98
	v_fma_f16 v96, v135, 0xbbdd, -v141
	v_fma_f16 v98, v135, 0x2de8, -v148
	;; [unrolled: 1-line block ×3, first 2 shown]
	v_fma_f16 v121, 0x3b76, v135, v45
	v_fma_f16 v45, v135, 0x3b76, -v45
	v_add_f16_e64 v136, v96, v132
	v_add_f16_e64 v139, v98, v106
	v_mul_f16_e32 v96, 0xba62, v47
	v_lshrrev_b32_e32 v138, 16, v58
	v_mul_f16_e32 v106, 0x3bb2, v27
	v_add_f16_e64 v68, v68, v129
	v_add_f16_e32 v67, v69, v67
	v_add_f16_e32 v69, v121, v70
	;; [unrolled: 1-line block ×3, first 2 shown]
	v_mul_f16_e32 v98, 0xba62, v27
	v_pk_fma_f16 v45, 0xb8d2, v56, v104 op_sel:[0,0,1] op_sel_hi:[0,1,0] neg_lo:[0,0,1] neg_hi:[0,0,1]
	v_fmamk_f16 v70, v58, 0xb8d2, v96
	v_mul_f16_e32 v121, 0xb5c8, v27
	v_fma_f16 v129, v138, 0xb461, -v106
	v_fma_f16 v104, v138, 0xb8d2, -v98
	v_pk_add_f16 v45, v45, v46
	v_add_f16_e32 v46, v70, v127
	v_fma_f16 v70, v138, 0x3b76, -v121
	v_add_f16_e64 v49, v129, v49
	v_mul_f16_e64 v129, 0xb836, v47
	v_mul_f16_e64 v132, 0xb836, v27
	;; [unrolled: 1-line block ×3, first 2 shown]
	v_add_f16_e32 v48, v104, v48
	v_add_f16_e32 v47, v70, v65
	v_mul_f16_e64 v150, 0xb964, v27
	v_fma_f16 v65, 0xbacd, v58, v129
	v_fma_f16 v70, v138, 0xbacd, -v132
	v_mul_f16_e32 v27, 0xb1e1, v27
	v_fma_f16 v104, v138, 0x2de8, -v146
	v_fma_f16 v127, v138, 0x39e9, -v150
	v_add_f16_e32 v65, v65, v66
	v_add_f16_e32 v66, v70, v68
	v_fma_f16 v68, 0xbbdd, v138, v27
	v_add_f16_e64 v70, v104, v136
	v_add_f16_e32 v67, v102, v67
	v_fma_f16 v27, v138, 0xbbdd, -v27
	v_mul_f16_e32 v102, 0xb836, v111
	v_lshrrev_b32_e32 v142, 16, v75
	v_mul_f16_e32 v104, 0xb836, v109
	v_add_f16_e64 v143, v127, v139
	v_add_f16_e32 v68, v68, v69
	v_add_f16_e32 v27, v27, v40
	v_pk_fma_f16 v40, 0x3722, v58, v112 op_sel:[0,0,1] op_sel_hi:[0,1,0] neg_lo:[0,0,1] neg_hi:[0,0,1]
	v_mul_f16_e32 v112, 0x3b29, v109
	v_fmamk_f16 v69, v75, 0xbacd, v102
	v_fma_f16 v136, v142, 0xbacd, -v104
	v_mul_f16_e32 v127, 0xbbf7, v109
	v_pk_add_f16 v40, v40, v45
	v_fma_f16 v45, v142, 0x3722, -v112
	v_add_f16_e32 v46, v69, v46
	v_add_f16_e64 v48, v136, v48
	v_fma_f16 v69, v142, 0x2de8, -v127
	v_mul_f16_e64 v136, 0x3a62, v111
	v_mul_f16_e64 v139, 0x3a62, v109
	;; [unrolled: 1-line block ×3, first 2 shown]
	v_add_f16_e32 v45, v45, v49
	v_add_f16_e32 v49, v69, v47
	v_fma_f16 v47, 0xb8d2, v75, v136
	v_mul_f16_e64 v151, 0xb1e1, v109
	v_fma_f16 v69, v142, 0xb8d2, -v139
	v_fma_f16 v111, v142, 0x3b76, -v147
	v_mul_f16_e32 v109, 0x3964, v109
	v_add_f16_e32 v65, v47, v65
	v_fma_f16 v47, v142, 0xbbdd, -v151
	v_add_f16_e32 v66, v69, v66
	v_add_f16_e32 v69, v111, v70
	v_fma_f16 v70, 0x39e9, v142, v109
	v_fma_f16 v111, v142, 0x39e9, -v109
	v_mul_f16_e32 v109, 0xb1e1, v123
	v_add_f16_e64 v155, v47, v143
	v_add_f16_e64 v156, v122, v67
	v_pk_fma_f16 v47, 0xb461, v75, v134 op_sel:[0,0,1] op_sel_hi:[0,1,0] neg_lo:[0,0,1] neg_hi:[0,0,1]
	v_add_f16_e32 v27, v111, v27
	v_fmamk_f16 v67, v79, 0xbbdd, v109
	v_lshrrev_b32_e32 v144, 16, v79
	v_mul_f16_e32 v111, 0xb1e1, v115
	v_mul_f16_e32 v122, 0x35c8, v115
	v_pk_add_f16 v157, v47, v40
	v_add_f16_e32 v46, v67, v46
	v_mul_f16_e32 v123, 0x3964, v123
	v_fma_f16 v40, v144, 0xbbdd, -v111
	v_fma_f16 v67, v144, 0x3b76, -v122
	v_mul_f16_e64 v143, 0x3964, v115
	s_clause 0x1
	s_load_b64 s[4:5], s[0:1], 0x20
	s_load_b64 s[2:3], s[0:1], 0x8
	v_mul_f16_e64 v134, 0xb836, v115
	v_add_f16_e32 v47, v40, v48
	v_add_f16_e32 v48, v67, v45
	v_fmamk_f16 v40, v79, 0x39e9, v123
	v_fma_f16 v45, v144, 0x39e9, -v143
	v_mul_f16_e64 v149, 0xba62, v115
	v_mul_f16_e64 v152, 0x3b29, v115
	v_mul_f16_e32 v67, 0xbbb2, v115
	v_add_f16_e32 v70, v70, v68
	v_fma_f16 v68, v144, 0xbacd, -v134
	v_add_f16_e32 v65, v40, v65
	v_add_f16_e32 v66, v45, v66
	v_fma_f16 v40, v144, 0xb8d2, -v149
	v_fma_f16 v45, v144, 0x3722, -v152
	v_fma_f16 v115, 0xb461, v144, v67
	v_fma_f16 v158, v144, 0xb461, -v67
	v_pk_fma_f16 v154, 0x2de8, v79, v154 op_sel:[0,0,1] op_sel_hi:[0,1,0] neg_lo:[0,0,1] neg_hi:[0,0,1]
	v_add_f16_e32 v49, v68, v49
	v_add_f16_e32 v67, v40, v69
	v_add_f16_e64 v68, v45, v155
	v_add_f16_e32 v40, v115, v70
	v_add_f16_e64 v69, v158, v27
	v_pk_add_f16 v70, v154, v157
	v_add_f16_e64 v27, v153, v156
	v_mul_lo_u16 v45, v44, 17
	global_wb scope:SCOPE_SE
	s_wait_kmcnt 0x0
	s_barrier_signal -1
	s_barrier_wait -1
	global_inv scope:SCOPE_SE
	s_and_saveexec_b32 s0, vcc_lo
	s_cbranch_execz .LBB0_7
; %bb.6:
	v_mul_f16_e32 v115, 0xb8d2, v119
	v_mul_f16_e64 v156, 0xb461, v116
	v_mul_f16_e64 v158, 0x3b76, v125
	;; [unrolled: 1-line block ×4, first 2 shown]
	v_add_f16_e64 v115, v131, v115
	v_add_f16_e64 v133, v133, v156
	;; [unrolled: 1-line block ×4, first 2 shown]
	v_mul_f16_e64 v155, 0x39e9, v51
	v_add_f16_e32 v115, v115, v78
	v_mul_f16_e64 v157, 0x3722, v51
	v_mul_f16_e64 v159, 0x2de8, v51
	;; [unrolled: 1-line block ×3, first 2 shown]
	v_mul_f16_e32 v51, 0xb8d2, v51
	v_add_f16_e64 v115, v133, v115
	v_mul_f16_e64 v160, 0x39e9, v50
	v_mul_f16_e64 v163, 0xb8d2, v50
	;; [unrolled: 1-line block ×3, first 2 shown]
	v_sub_f16_e32 v42, v51, v42
	v_add_f16_e64 v115, v140, v115
	v_mul_f16_e64 v140, 0x2de8, v135
	v_mul_f16_e64 v154, 0x3b76, v119
	;; [unrolled: 1-line block ×4, first 2 shown]
	v_add_f16_e64 v115, v145, v115
	v_add_f16_e64 v140, v148, v140
	v_mul_f16_e64 v145, 0x39e9, v138
	v_mul_f16_e64 v148, 0x2de8, v50
	;; [unrolled: 1-line block ×3, first 2 shown]
	v_mul_f16_e32 v119, 0xb461, v119
	v_add_f16_e64 v115, v140, v115
	v_add_f16_e64 v140, v150, v145
	v_mul_f16_e64 v150, 0xbbdd, v50
	v_mul_f16_e32 v50, 0xb461, v50
	v_add_f16_e32 v42, v42, v0
	v_mul_f16_e64 v161, 0x39e9, v116
	v_add_f16_e64 v115, v140, v115
	v_mul_f16_e64 v140, 0xbbdd, v142
	v_sub_f16_e32 v50, v50, v55
	v_mul_f16_e32 v55, 0x3b76, v52
	v_mul_f16_e64 v162, 0x2de8, v116
	v_mul_f16_e64 v145, 0xb8d2, v116
	;; [unrolled: 1-line block ×3, first 2 shown]
	v_mul_f16_e32 v116, 0xbacd, v116
	v_add_f16_e64 v140, v151, v140
	v_add_f16_e32 v42, v50, v42
	v_sub_f16_e32 v50, v55, v61
	v_mul_f16_e32 v61, 0xbacd, v53
	v_add_f16_e32 v117, v117, v119
	v_add_f16_e64 v115, v140, v115
	v_mul_f16_e64 v140, 0x3722, v125
	v_mul_f16_e32 v55, 0xb8d2, v125
	v_add_f16_e32 v42, v50, v42
	v_mul_f16_e32 v50, 0xbbdd, v125
	v_sub_f16_e32 v61, v61, v63
	v_mul_f16_e32 v119, 0xb461, v125
	v_add_f16_e32 v116, v118, v116
	v_mul_f16_e32 v118, 0x2de8, v56
	v_mul_f16_e32 v125, 0x39e9, v125
	v_add_f16_e32 v117, v117, v78
	v_add_f16_e32 v42, v61, v42
	v_mul_f16_e64 v151, 0x3722, v144
	v_sub_f16_e32 v64, v118, v64
	v_add_f16_e64 v125, v128, v125
	v_add_f16_e32 v116, v116, v117
	v_mul_f16_e32 v117, 0x39e9, v58
	v_add_f16_e64 v151, v152, v151
	v_add_f16_e32 v42, v64, v42
	v_mul_f16_e64 v64, 0x3722, v130
	v_add_f16_e32 v116, v125, v116
	v_sub_f16_e32 v80, v117, v80
	v_mul_f16_e32 v125, 0xbbdd, v75
	v_sub_f16_e64 v36, v158, v36
	v_add_f16_e64 v64, v137, v64
	v_mul_f16_e32 v51, 0x3722, v52
	v_add_f16_e32 v42, v80, v42
	v_mul_f16_e64 v80, 0xbbdd, v135
	v_sub_f16_e32 v83, v125, v83
	v_mul_f16_e64 v152, 0xb8d2, v52
	v_add_f16_e64 v115, v151, v115
	v_mul_f16_e64 v151, 0xbbdd, v52
	v_mul_f16_e32 v63, 0xb461, v52
	v_mul_f16_e32 v52, 0x39e9, v52
	v_add_f16_e32 v64, v64, v116
	v_add_f16_e64 v80, v141, v80
	v_add_f16_e32 v42, v83, v42
	v_mul_f16_e64 v83, 0x2de8, v138
	v_sub_f16_e64 v37, v165, v37
	v_add_f16_e32 v36, v36, v0
	v_add_f16_e64 v101, v101, v133
	v_mul_f16_e32 v61, 0x2de8, v53
	v_mul_f16_e64 v128, 0xbbdd, v53
	v_mul_f16_e64 v137, 0xb461, v53
	v_mul_f16_e32 v116, 0x3b76, v53
	v_mul_f16_e64 v141, 0x3722, v79
	v_mul_f16_e32 v53, 0x3722, v53
	v_add_f16_e32 v64, v80, v64
	v_add_f16_e64 v83, v146, v83
	v_mul_f16_e64 v158, 0x3b76, v142
	v_add_f16_e32 v36, v37, v36
	v_sub_f16_e32 v41, v52, v41
	v_add_f16_e64 v103, v103, v164
	v_add_f16_e32 v101, v101, v78
	v_mul_f16_e64 v118, 0x2de8, v130
	v_mul_f16_e64 v117, 0xbbdd, v130
	;; [unrolled: 1-line block ×4, first 2 shown]
	v_sub_f16_e64 v97, v141, v97
	v_mul_f16_e64 v141, 0xb461, v56
	v_mul_f16_e64 v146, 0xbacd, v56
	v_add_f16_e32 v64, v83, v64
	v_mul_f16_e32 v83, 0x39e9, v56
	v_add_f16_e64 v147, v147, v158
	v_mul_f16_e64 v158, 0x3722, v56
	v_mul_f16_e32 v56, 0xbbdd, v56
	v_mul_f16_e64 v37, 0xb8d2, v144
	v_add_f16_e32 v36, v41, v36
	v_sub_f16_e32 v53, v53, v54
	v_add_f16_e32 v101, v103, v101
	v_add_f16_e32 v113, v113, v119
	v_sub_f16_e64 v94, v159, v94
	v_pk_add_f16 v1, v1, v0
	v_mul_f16_e64 v80, 0xb461, v135
	v_add_f16_e32 v42, v97, v42
	v_mul_f16_e64 v97, 0xbacd, v135
	v_mul_f16_e64 v165, 0x39e9, v135
	;; [unrolled: 1-line block ×3, first 2 shown]
	v_mul_f16_e32 v52, 0xb8d2, v58
	v_add_f16_e64 v37, v149, v37
	v_mul_f16_e64 v149, 0xb461, v58
	v_mul_f16_e32 v54, 0x3b76, v58
	v_mul_f16_e64 v164, 0xbacd, v58
	v_mul_f16_e32 v58, 0x2de8, v58
	v_add_f16_e32 v36, v53, v36
	v_sub_f16_e32 v56, v56, v57
	v_add_f16_e32 v101, v113, v101
	v_add_f16_e64 v120, v120, v130
	v_sub_f16_e64 v95, v150, v95
	v_add_f16_e32 v94, v94, v0
	v_pk_add_f16 v1, v14, v1
	v_add_f16_e64 v64, v147, v64
	v_mul_f16_e64 v147, 0xb8d2, v138
	v_mul_f16_e64 v41, 0xb461, v138
	;; [unrolled: 1-line block ×4, first 2 shown]
	v_mul_f16_e32 v53, 0xbacd, v75
	v_mul_f16_e32 v103, 0x3722, v75
	v_add_f16_e32 v36, v56, v36
	v_mul_f16_e32 v56, 0x2de8, v75
	v_sub_f16_e32 v58, v58, v60
	v_mul_f16_e32 v113, 0xb8d2, v75
	v_mul_f16_e32 v75, 0x3b76, v75
	v_add_f16_e32 v101, v120, v101
	v_add_f16_e64 v126, v126, v135
	v_add_f16_e32 v94, v95, v94
	v_sub_f16_e32 v63, v63, v108
	v_pk_add_f16 v1, v15, v1
	v_mul_f16_e64 v57, 0xbacd, v142
	v_mul_f16_e64 v119, 0x3722, v142
	;; [unrolled: 1-line block ×7, first 2 shown]
	v_mul_f16_e32 v108, 0x39e9, v79
	v_mul_f16_e32 v79, 0xb8d2, v79
	v_add_f16_e32 v36, v58, v36
	v_sub_f16_e32 v58, v75, v73
	v_add_f16_e32 v73, v126, v101
	v_add_f16_e64 v75, v132, v138
	v_add_f16_e32 v63, v63, v94
	v_sub_f16_e32 v94, v116, v114
	v_sub_f16_e64 v22, v155, v22
	v_pk_add_f16 v1, v12, v1
	v_add_f16_e32 v36, v58, v36
	v_sub_f16_e32 v58, v79, v84
	v_add_f16_e32 v73, v75, v73
	v_add_f16_e64 v75, v139, v142
	v_add_f16_e32 v63, v94, v63
	v_sub_f16_e64 v79, v158, v124
	v_add_f16_e32 v22, v22, v0
	v_sub_f16_e64 v14, v148, v20
	v_pk_add_f16 v1, v13, v1
	v_add_f16_e32 v36, v58, v36
	v_add_f16_e32 v58, v75, v73
	;; [unrolled: 1-line block ×3, first 2 shown]
	v_sub_f16_e64 v73, v164, v129
	v_sub_f16_e64 v29, v157, v29
	v_add_f16_e32 v14, v14, v22
	v_sub_f16_e64 v15, v152, v21
	v_pk_add_f16 v1, v10, v1
	v_add_f16_e32 v63, v73, v63
	v_sub_f16_e64 v73, v113, v136
	v_add_f16_e32 v29, v29, v0
	v_sub_f16_e64 v31, v163, v31
	;; [unrolled: 2-line block ×3, first 2 shown]
	v_add_f16_e64 v22, v76, v154
	v_sub_f16_e64 v28, v153, v72
	v_pk_add_f16 v1, v11, v1
	v_add_f16_e32 v37, v37, v64
	v_add_f16_e64 v64, v89, v156
	v_add_f16_e32 v63, v73, v63
	v_add_f16_e32 v29, v31, v29
	v_sub_f16_e64 v31, v151, v33
	v_add_f16_e64 v73, v85, v131
	v_add_f16_e32 v14, v15, v14
	v_add_f16_e32 v15, v22, v78
	v_add_f16_e64 v10, v77, v161
	v_add_f16_e32 v0, v28, v0
	v_sub_f16_e64 v22, v160, v74
	v_pk_add_f16 v1, v8, v1
	v_add_f16_e32 v64, v64, v78
	v_add_f16_e64 v75, v90, v145
	v_add_f16_e32 v29, v31, v29
	v_sub_f16_e64 v31, v137, v34
	v_add_f16_e32 v34, v73, v78
	v_add_f16_e64 v73, v86, v162
	v_add_f16_e32 v10, v10, v15
	v_add_f16_e64 v11, v82, v140
	v_add_f16_e32 v0, v22, v0
	v_sub_f16_e32 v15, v51, v81
	v_pk_add_f16 v1, v9, v1
	v_add_f16_e32 v64, v75, v64
	v_add_f16_e32 v50, v99, v50
	;; [unrolled: 1-line block ×3, first 2 shown]
	v_sub_f16_e32 v31, v83, v35
	v_add_f16_e32 v34, v73, v34
	v_add_f16_e32 v35, v93, v55
	;; [unrolled: 1-line block ×5, first 2 shown]
	v_sub_f16_e32 v9, v61, v87
	v_pk_add_f16 v1, v6, v1
	v_add_f16_e32 v50, v50, v64
	v_add_f16_e32 v64, v105, v125
	;; [unrolled: 1-line block ×3, first 2 shown]
	v_sub_f16_e32 v31, v54, v38
	v_add_f16_e32 v34, v35, v34
	v_add_f16_e32 v35, v100, v117
	;; [unrolled: 1-line block ×5, first 2 shown]
	v_sub_f16_e64 v6, v141, v91
	v_pk_add_f16 v1, v7, v1
	v_add_f16_e32 v50, v64, v50
	v_add_f16_e64 v64, v110, v165
	v_add_f16_e32 v29, v31, v29
	v_sub_f16_e32 v31, v56, v62
	v_add_f16_e32 v34, v35, v34
	v_add_f16_e32 v35, v107, v97
	v_sub_f16_e64 v28, v146, v30
	v_add_f16_e32 v9, v11, v10
	v_add_f16_e64 v7, v98, v147
	v_add_f16_e32 v0, v6, v0
	v_sub_f16_e32 v6, v52, v96
	v_pk_add_f16 v1, v4, v1
	v_add_f16_e32 v50, v64, v50
	v_add_f16_e64 v64, v121, v133
	v_add_f16_e32 v29, v31, v29
	v_add_f16_e32 v31, v35, v34
	;; [unrolled: 1-line block ×4, first 2 shown]
	v_sub_f16_e64 v14, v149, v32
	v_mul_f16_e64 v130, 0xbbdd, v144
	v_add_f16_e32 v4, v7, v9
	v_add_f16_e32 v7, v104, v57
	;; [unrolled: 1-line block ×3, first 2 shown]
	v_sub_f16_e32 v6, v53, v102
	v_pk_add_f16 v1, v5, v1
	v_mul_f16_e64 v120, 0x3b76, v144
	v_mul_f16_e64 v95, 0xbacd, v144
	v_add_f16_e32 v50, v64, v50
	v_add_f16_e32 v55, v127, v60
	;; [unrolled: 1-line block ×5, first 2 shown]
	v_sub_f16_e32 v10, v103, v39
	v_mul_f16_e64 v144, 0x39e9, v144
	v_add_f16_e32 v4, v7, v4
	v_add_f16_e64 v7, v111, v130
	v_add_f16_e32 v0, v6, v0
	v_pk_add_f16 v1, v2, v1
	v_sub_f16_e64 v2, v159, v109
	v_add_f16_e32 v38, v55, v50
	v_add_f16_e64 v50, v134, v95
	v_sub_f16_e64 v20, v135, v71
	v_add_f16_e32 v12, v34, v31
	v_add_f16_e32 v13, v122, v120
	;; [unrolled: 1-line block ×3, first 2 shown]
	v_sub_f16_e64 v6, v150, v59
	v_add_f16_e64 v79, v143, v144
	v_sub_f16_e32 v33, v108, v123
	v_add_f16_e32 v4, v7, v4
	v_and_b32_e32 v7, 0xffff, v45
	v_pk_add_f16 v1, v3, v1
	v_add_f16_e32 v0, v2, v0
	v_add_f16_e32 v21, v50, v38
	;; [unrolled: 1-line block ×7, first 2 shown]
	v_lshlrev_b32_e32 v5, 2, v7
	v_pk_add_f16 v1, v19, v1
	v_pack_b32_f16 v0, v0, v4
	v_pack_b32_f16 v4, v20, v21
	;; [unrolled: 1-line block ×6, first 2 shown]
	v_perm_b32 v8, v40, v27, 0x5040100
	ds_store_2addr_b32 v5, v1, v0 offset1:1
	ds_store_2addr_b32 v5, v2, v4 offset0:2 offset1:3
	ds_store_2addr_b32 v5, v6, v3 offset0:4 offset1:5
	;; [unrolled: 1-line block ×3, first 2 shown]
	v_bfi_b32 v0, 0xffff, v25, v70
	v_bfi_b32 v1, 0xffff, v70, v25
	v_perm_b32 v2, v68, v23, 0x5040100
	v_perm_b32 v3, v69, v26, 0x5040100
	;; [unrolled: 1-line block ×7, first 2 shown]
	ds_store_2addr_b32 v5, v1, v0 offset0:8 offset1:9
	ds_store_2addr_b32 v5, v3, v2 offset0:10 offset1:11
	;; [unrolled: 1-line block ×4, first 2 shown]
	ds_store_b32 v5, v9 offset:64
.LBB0_7:
	s_wait_alu 0xfffe
	s_or_b32 exec_lo, exec_lo, s0
	v_add_nc_u32_e32 v0, 0x400, v43
	v_add_nc_u32_e32 v1, 0x800, v43
	global_wb scope:SCOPE_SE
	s_wait_dscnt 0x0
	s_barrier_signal -1
	s_barrier_wait -1
	global_inv scope:SCOPE_SE
	ds_load_2addr_b32 v[8:9], v43 offset1:153
	ds_load_2addr_b32 v[12:13], v0 offset0:50 offset1:203
	ds_load_2addr_b32 v[10:11], v1 offset0:100 offset1:253
	ds_load_b32 v14, v43 offset:3672
	v_cmp_gt_u16_e64 s0, 34, v44
	v_lshrrev_b32_e32 v15, 16, v25
	s_delay_alu instid0(VALU_DEP_2)
	s_and_saveexec_b32 s1, s0
	s_cbranch_execz .LBB0_9
; %bb.8:
	v_add_nc_u32_e32 v0, 0x100, v43
	v_add_nc_u32_e32 v1, 0x600, v43
	;; [unrolled: 1-line block ×3, first 2 shown]
	ds_load_b32 v65, v43 offset:4148
	ds_load_2addr_b32 v[27:28], v0 offset0:55 offset1:208
	ds_load_2addr_b32 v[25:26], v1 offset0:41 offset1:194
	;; [unrolled: 1-line block ×3, first 2 shown]
	s_wait_dscnt 0x3
	v_lshrrev_b32_e32 v66, 16, v65
	s_wait_dscnt 0x2
	v_lshrrev_b32_e32 v40, 16, v27
	v_lshrrev_b32_e32 v15, 16, v28
	s_wait_dscnt 0x1
	v_lshrrev_b32_e32 v69, 16, v26
	s_wait_dscnt 0x0
	v_lshrrev_b32_e32 v68, 16, v23
	v_lshrrev_b32_e32 v67, 16, v24
	v_bfi_b32 v70, 0xffff, v28, v25
.LBB0_9:
	s_wait_alu 0xfffe
	s_or_b32 exec_lo, exec_lo, s1
	v_and_b32_e32 v0, 0xff, v44
	s_wait_dscnt 0x3
	v_lshrrev_b32_e32 v32, 16, v9
	s_wait_dscnt 0x2
	v_lshrrev_b32_e32 v33, 16, v12
	v_lshrrev_b32_e32 v34, 16, v13
	s_wait_dscnt 0x1
	v_lshrrev_b32_e32 v35, 16, v10
	v_mul_lo_u16 v0, 0xf1, v0
	v_lshrrev_b32_e32 v36, 16, v11
	s_wait_dscnt 0x0
	v_lshrrev_b32_e32 v37, 16, v14
	v_lshrrev_b32_e32 v38, 16, v70
	;; [unrolled: 1-line block ×3, first 2 shown]
	v_lshrrev_b16 v28, 12, v0
	v_add_nc_u16 v0, v44, 0x77
	s_delay_alu instid0(VALU_DEP_2) | instskip(NEXT) | instid1(VALU_DEP_2)
	v_mul_lo_u16 v1, v28, 17
	v_and_b32_e32 v2, 0xff, v0
	v_and_b32_e32 v28, 0xffff, v28
	s_delay_alu instid0(VALU_DEP_3) | instskip(NEXT) | instid1(VALU_DEP_3)
	v_sub_nc_u16 v1, v44, v1
	v_mul_lo_u16 v2, 0xf1, v2
	s_delay_alu instid0(VALU_DEP_3) | instskip(NEXT) | instid1(VALU_DEP_3)
	v_mul_u32_u24_e32 v28, 0x77, v28
	v_and_b32_e32 v29, 0xff, v1
	s_delay_alu instid0(VALU_DEP_3) | instskip(NEXT) | instid1(VALU_DEP_2)
	v_lshrrev_b16 v30, 12, v2
	v_mul_u32_u24_e32 v1, 6, v29
	s_delay_alu instid0(VALU_DEP_2) | instskip(SKIP_2) | instid1(VALU_DEP_4)
	v_mul_lo_u16 v2, v30, 17
	v_and_b32_e32 v51, 0xffff, v30
	v_add_lshl_u32 v58, v28, v29, 2
	v_lshlrev_b32_e32 v1, 2, v1
	s_delay_alu instid0(VALU_DEP_4) | instskip(SKIP_4) | instid1(VALU_DEP_1)
	v_sub_nc_u16 v0, v0, v2
	s_clause 0x1
	global_load_b128 v[4:7], v1, s[2:3]
	global_load_b64 v[21:22], v1, s[2:3] offset:16
	v_and_b32_e32 v50, 0xff, v0
	v_mul_u32_u24_e32 v0, 6, v50
	s_delay_alu instid0(VALU_DEP_1)
	v_lshlrev_b32_e32 v19, 2, v0
	s_clause 0x1
	global_load_b128 v[0:3], v19, s[2:3]
	global_load_b64 v[19:20], v19, s[2:3] offset:16
	s_load_b128 s[4:7], s[4:5], 0x0
	global_wb scope:SCOPE_SE
	s_wait_loadcnt 0x0
	s_wait_kmcnt 0x0
	s_barrier_signal -1
	s_barrier_wait -1
	global_inv scope:SCOPE_SE
	v_lshrrev_b32_e32 v64, 16, v4
	v_lshrrev_b32_e32 v63, 16, v5
	v_lshrrev_b32_e32 v62, 16, v6
	v_lshrrev_b32_e32 v60, 16, v7
	v_lshrrev_b32_e32 v59, 16, v21
	v_lshrrev_b32_e32 v61, 16, v22
	v_mul_f16_e32 v28, v32, v64
	v_mul_f16_e32 v29, v9, v64
	;; [unrolled: 1-line block ×12, first 2 shown]
	v_lshrrev_b32_e32 v56, 16, v0
	v_lshrrev_b32_e32 v54, 16, v1
	;; [unrolled: 1-line block ×6, first 2 shown]
	v_fma_f16 v9, v9, v4, -v28
	v_fmac_f16_e32 v29, v32, v4
	v_fma_f16 v12, v12, v5, -v30
	v_fmac_f16_e32 v39, v33, v5
	;; [unrolled: 2-line block ×6, first 2 shown]
	v_mul_f16_e32 v28, v15, v56
	v_mul_f16_e32 v30, v70, v56
	v_mul_f16_e32 v32, v38, v54
	v_mul_f16_e32 v33, v25, v54
	v_mul_f16_e32 v34, v69, v52
	v_mul_f16_e32 v36, v68, v53
	v_mul_f16_e32 v41, v67, v55
	v_mul_f16_e32 v71, v24, v55
	v_mul_f16_e32 v73, v66, v57
	v_mul_f16_e32 v75, v65, v57
	v_mul_f16_e32 v35, v26, v52
	v_mul_f16_e32 v37, v23, v53
	v_fma_f16 v28, v70, v0, -v28
	v_fmac_f16_e32 v30, v15, v0
	v_fma_f16 v15, v25, v1, -v32
	v_fmac_f16_e32 v33, v38, v1
	v_fma_f16 v25, v26, v2, -v34
	v_fma_f16 v23, v23, v3, -v36
	;; [unrolled: 1-line block ×3, first 2 shown]
	v_fmac_f16_e32 v71, v67, v19
	v_fma_f16 v26, v65, v20, -v73
	v_fmac_f16_e32 v75, v66, v20
	v_add_f16_e32 v32, v9, v14
	v_add_f16_e32 v34, v29, v76
	v_sub_f16_e32 v9, v9, v14
	v_sub_f16_e32 v14, v29, v76
	v_add_f16_e32 v29, v12, v11
	v_add_f16_e32 v36, v39, v74
	v_sub_f16_e32 v11, v12, v11
	v_sub_f16_e32 v12, v39, v74
	;; [unrolled: 4-line block ×3, first 2 shown]
	v_fmac_f16_e32 v35, v69, v2
	v_fmac_f16_e32 v37, v68, v3
	v_add_f16_e32 v41, v29, v32
	v_add_f16_e32 v42, v36, v34
	v_sub_f16_e32 v65, v29, v32
	v_sub_f16_e32 v66, v36, v34
	;; [unrolled: 1-line block ×6, first 2 shown]
	v_add_f16_e32 v67, v10, v11
	v_sub_f16_e32 v69, v10, v11
	v_sub_f16_e32 v70, v13, v12
	;; [unrolled: 1-line block ×3, first 2 shown]
	v_add_f16_e32 v72, v28, v26
	v_add_f16_e32 v73, v30, v75
	v_sub_f16_e32 v26, v28, v26
	v_sub_f16_e32 v28, v30, v75
	v_add_f16_e32 v30, v15, v24
	v_add_f16_e32 v74, v33, v71
	;; [unrolled: 1-line block ×3, first 2 shown]
	v_sub_f16_e32 v10, v9, v10
	v_sub_f16_e32 v13, v14, v13
	;; [unrolled: 1-line block ×5, first 2 shown]
	v_add_f16_e32 v33, v25, v23
	v_add_f16_e32 v71, v35, v37
	v_sub_f16_e32 v23, v23, v25
	v_sub_f16_e32 v25, v37, v35
	v_add_f16_e32 v35, v38, v41
	v_add_f16_e32 v37, v39, v42
	;; [unrolled: 1-line block ×3, first 2 shown]
	v_mul_f16_e32 v32, 0x3a52, v32
	v_mul_f16_e32 v34, 0x3a52, v34
	;; [unrolled: 1-line block ×7, first 2 shown]
	v_add_f16_e32 v69, v30, v72
	v_add_f16_e32 v70, v74, v73
	;; [unrolled: 1-line block ×3, first 2 shown]
	v_mul_f16_e32 v68, 0x3b00, v12
	v_sub_f16_e32 v75, v30, v72
	v_sub_f16_e32 v76, v74, v73
	;; [unrolled: 1-line block ×6, first 2 shown]
	v_add_f16_e32 v77, v23, v15
	v_add_f16_e32 v78, v25, v24
	v_sub_f16_e32 v79, v23, v15
	v_sub_f16_e32 v80, v25, v24
	;; [unrolled: 1-line block ×4, first 2 shown]
	v_add_f16_e32 v81, v8, v35
	v_add_f16_e32 v31, v31, v37
	v_fmamk_f16 v29, v29, 0x2b26, v32
	v_fmamk_f16 v36, v36, 0x2b26, v34
	v_fma_f16 v38, v65, 0x39e0, -v38
	v_fma_f16 v39, v66, 0x39e0, -v39
	;; [unrolled: 1-line block ×4, first 2 shown]
	v_fmamk_f16 v65, v10, 0x3574, v41
	v_fmamk_f16 v66, v13, 0x3574, v42
	v_fma_f16 v41, v11, 0x3b00, -v41
	v_fma_f16 v12, v12, 0x3b00, -v42
	v_fma_f16 v42, v10, 0xb574, -v67
	v_add_f16_e32 v33, v33, v69
	v_add_f16_e32 v67, v71, v70
	v_sub_f16_e32 v23, v26, v23
	v_sub_f16_e32 v25, v28, v25
	v_fma_f16 v13, v13, 0xb574, -v68
	v_mul_f16_e32 v10, 0x3a52, v72
	v_mul_f16_e32 v11, 0x3a52, v73
	v_mul_f16_e32 v68, 0x2b26, v30
	v_mul_f16_e32 v69, 0x2b26, v74
	v_mul_f16_e32 v70, 0xb846, v79
	v_mul_f16_e32 v71, 0xb846, v80
	v_mul_f16_e32 v72, 0x3b00, v15
	v_mul_f16_e32 v73, 0x3b00, v24
	v_fmamk_f16 v35, v35, 0xbcab, v81
	v_fmamk_f16 v37, v37, 0xbcab, v31
	v_fmac_f16_e32 v65, 0x370e, v9
	v_fmac_f16_e32 v41, 0x370e, v9
	;; [unrolled: 1-line block ×3, first 2 shown]
	v_add_f16_e32 v8, v27, v33
	v_add_f16_e32 v9, v40, v67
	;; [unrolled: 1-line block ×4, first 2 shown]
	v_fmac_f16_e32 v66, 0x370e, v14
	v_fmac_f16_e32 v12, 0x370e, v14
	;; [unrolled: 1-line block ×3, first 2 shown]
	v_fmamk_f16 v14, v30, 0x2b26, v10
	v_fmamk_f16 v27, v74, 0x2b26, v11
	v_fma_f16 v30, v75, 0x39e0, -v68
	v_fma_f16 v40, v76, 0x39e0, -v69
	;; [unrolled: 1-line block ×4, first 2 shown]
	v_fmamk_f16 v11, v23, 0x3574, v70
	v_fmamk_f16 v10, v25, 0x3574, v71
	v_fma_f16 v15, v15, 0x3b00, -v70
	v_fma_f16 v24, v24, 0x3b00, -v71
	;; [unrolled: 1-line block ×4, first 2 shown]
	v_pack_b32_f16 v25, v81, v31
	v_add_f16_e32 v29, v29, v35
	v_add_f16_e32 v31, v36, v37
	;; [unrolled: 1-line block ×5, first 2 shown]
	v_fmamk_f16 v33, v33, 0xbcab, v8
	v_fmamk_f16 v35, v67, 0xbcab, v9
	v_add_f16_e32 v34, v34, v37
	v_fmac_f16_e32 v11, 0x370e, v26
	v_fmac_f16_e32 v10, 0x370e, v28
	;; [unrolled: 1-line block ×6, first 2 shown]
	v_add_f16_e32 v37, v66, v29
	v_sub_f16_e32 v39, v31, v65
	v_add_f16_e32 v67, v13, v32
	v_sub_f16_e32 v72, v36, v12
	v_add_f16_e32 v76, v41, v38
	v_add_f16_e32 v36, v12, v36
	v_sub_f16_e32 v38, v38, v41
	v_sub_f16_e32 v32, v32, v13
	v_add_f16_e32 v12, v14, v33
	v_add_f16_e32 v14, v68, v33
	;; [unrolled: 1-line block ×6, first 2 shown]
	v_sub_f16_e32 v71, v34, v42
	v_add_f16_e32 v34, v42, v34
	v_sub_f16_e32 v29, v29, v66
	v_add_f16_e32 v31, v65, v31
	v_add_f16_e32 v26, v23, v14
	v_sub_f16_e32 v77, v41, v70
	v_sub_f16_e32 v27, v28, v24
	v_add_f16_e32 v75, v15, v30
	v_add_f16_e32 v28, v24, v28
	v_sub_f16_e32 v74, v30, v15
	v_sub_f16_e32 v23, v14, v23
	v_add_f16_e32 v73, v70, v41
	v_sub_f16_e32 v24, v12, v10
	v_pack_b32_f16 v14, v37, v39
	v_pack_b32_f16 v30, v72, v76
	v_add_f16_e32 v76, v11, v13
	v_pack_b32_f16 v15, v67, v71
	v_pack_b32_f16 v33, v36, v38
	;; [unrolled: 1-line block ×4, first 2 shown]
	ds_store_2addr_b32 v58, v25, v14 offset1:17
	ds_store_2addr_b32 v58, v15, v30 offset0:34 offset1:51
	ds_store_2addr_b32 v58, v33, v32 offset0:68 offset1:85
	ds_store_b32 v58, v29 offset:408
	s_and_saveexec_b32 s1, s0
	s_cbranch_execz .LBB0_11
; %bb.10:
	v_sub_f16_e32 v11, v13, v11
	v_mul_u32_u24_e32 v13, 0x77, v51
	v_add_f16_e32 v10, v10, v12
	v_perm_b32 v8, v9, v8, 0x5040100
	v_perm_b32 v12, v75, v27, 0x5040100
	;; [unrolled: 1-line block ×3, first 2 shown]
	v_add_lshl_u32 v9, v13, v50, 2
	v_pack_b32_f16 v10, v10, v11
	v_perm_b32 v11, v77, v26, 0x5040100
	v_perm_b32 v13, v74, v28, 0x5040100
	;; [unrolled: 1-line block ×3, first 2 shown]
	ds_store_2addr_b32 v9, v8, v10 offset1:17
	ds_store_2addr_b32 v9, v11, v12 offset0:34 offset1:51
	ds_store_2addr_b32 v9, v13, v14 offset0:68 offset1:85
	ds_store_b32 v9, v15 offset:408
.LBB0_11:
	s_wait_alu 0xfffe
	s_or_b32 exec_lo, exec_lo, s1
	v_lshlrev_b32_e32 v12, 5, v44
	global_wb scope:SCOPE_SE
	s_wait_dscnt 0x0
	s_barrier_signal -1
	s_barrier_wait -1
	global_inv scope:SCOPE_SE
	s_clause 0x1
	global_load_b128 v[8:11], v12, s[2:3] offset:408
	global_load_b128 v[12:15], v12, s[2:3] offset:424
	v_add_nc_u32_e32 v37, 0x400, v43
	v_add_nc_u32_e32 v38, 0x800, v43
	;; [unrolled: 1-line block ×3, first 2 shown]
	ds_load_b32 v40, v43
	ds_load_2addr_b32 v[29:30], v43 offset0:119 offset1:238
	ds_load_2addr_b32 v[31:32], v37 offset0:101 offset1:220
	;; [unrolled: 1-line block ×4, first 2 shown]
	v_add_nc_u32_e32 v41, 0x200, v43
	v_add_nc_u32_e32 v87, 0xa00, v43
	;; [unrolled: 1-line block ×3, first 2 shown]
	s_wait_dscnt 0x2
	v_lshrrev_b32_e32 v79, 16, v31
	v_lshrrev_b32_e32 v25, 16, v29
	;; [unrolled: 1-line block ×4, first 2 shown]
	s_wait_dscnt 0x1
	v_lshrrev_b32_e32 v81, 16, v33
	v_lshrrev_b32_e32 v82, 16, v34
	s_wait_dscnt 0x0
	v_lshrrev_b32_e32 v83, 16, v35
	v_lshrrev_b32_e32 v84, 16, v36
	;; [unrolled: 1-line block ×3, first 2 shown]
	s_wait_loadcnt 0x1
	v_lshrrev_b32_e32 v72, 16, v8
	v_lshrrev_b32_e32 v71, 16, v9
	;; [unrolled: 1-line block ×4, first 2 shown]
	s_wait_loadcnt 0x0
	v_lshrrev_b32_e32 v68, 16, v12
	v_lshrrev_b32_e32 v65, 16, v13
	;; [unrolled: 1-line block ×4, first 2 shown]
	v_mul_f16_e32 v86, v25, v72
	v_mul_f16_e32 v88, v29, v72
	v_mul_f16_e32 v89, v78, v71
	v_mul_f16_e32 v90, v30, v71
	v_mul_f16_e32 v91, v79, v70
	v_mul_f16_e32 v93, v80, v69
	v_mul_f16_e32 v95, v81, v68
	v_mul_f16_e32 v97, v82, v65
	v_mul_f16_e32 v99, v83, v66
	v_mul_f16_e32 v100, v35, v66
	v_mul_f16_e32 v101, v84, v67
	v_mul_f16_e32 v102, v36, v67
	v_mul_f16_e32 v92, v31, v70
	v_mul_f16_e32 v94, v32, v69
	v_mul_f16_e32 v96, v33, v68
	v_mul_f16_e32 v98, v34, v65
	v_fma_f16 v29, v29, v8, -v86
	v_fmac_f16_e32 v88, v25, v8
	v_fma_f16 v25, v30, v9, -v89
	v_fmac_f16_e32 v90, v78, v9
	v_fma_f16 v30, v31, v10, -v91
	v_fma_f16 v31, v32, v11, -v93
	;; [unrolled: 1-line block ×5, first 2 shown]
	v_fmac_f16_e32 v102, v84, v15
	v_fma_f16 v35, v35, v14, -v99
	v_fmac_f16_e32 v100, v83, v14
	v_fmac_f16_e32 v92, v79, v10
	v_fmac_f16_e32 v94, v80, v11
	v_fmac_f16_e32 v96, v81, v12
	v_fmac_f16_e32 v98, v82, v13
	v_add_f16_e32 v36, v29, v34
	v_add_f16_e32 v80, v88, v102
	;; [unrolled: 1-line block ×4, first 2 shown]
	v_sub_f16_e32 v29, v29, v34
	v_sub_f16_e32 v83, v31, v33
	v_add_f16_e32 v86, v30, v32
	v_add_f16_e32 v89, v92, v98
	v_sub_f16_e32 v34, v88, v102
	v_sub_f16_e32 v25, v25, v35
	;; [unrolled: 1-line block ×3, first 2 shown]
	v_add_f16_e32 v88, v31, v33
	v_add_f16_e32 v90, v94, v96
	v_mul_f16_e32 v91, 0x3924, v29
	v_mul_f16_e32 v97, 0xb924, v83
	v_add_f16_e32 v103, v81, v36
	v_add_f16_e32 v104, v82, v80
	v_mul_f16_e32 v105, 0x3be1, v83
	v_sub_f16_e32 v30, v30, v32
	v_sub_f16_e32 v84, v94, v96
	v_fmac_f16_e32 v91, 0x3be1, v25
	v_fmac_f16_e32 v97, 0x3be1, v29
	v_add_f16_e32 v107, v88, v103
	v_add_f16_e32 v108, v90, v104
	v_fma_f16 v105, v25, 0xb924, -v105
	v_add_f16_e32 v103, v86, v103
	v_add_f16_e32 v104, v89, v104
	v_sub_f16_e32 v78, v92, v98
	v_mul_f16_e32 v92, 0x3924, v34
	v_mul_f16_e32 v98, 0xb924, v84
	v_add_f16_e32 v101, v83, v29
	v_mul_f16_e32 v106, 0x3be1, v84
	v_fmac_f16_e32 v91, 0x3aee, v30
	v_fmac_f16_e32 v97, 0xbaee, v30
	;; [unrolled: 1-line block ×3, first 2 shown]
	v_add_f16_e32 v30, v31, v103
	v_add_f16_e32 v31, v94, v104
	v_fmac_f16_e32 v92, 0x3be1, v35
	v_fmac_f16_e32 v98, 0x3be1, v34
	v_sub_f16_e32 v101, v101, v25
	v_fma_f16 v106, v35, 0xb924, -v106
	v_fmac_f16_e32 v97, 0x3579, v25
	v_add_f16_e32 v25, v33, v30
	v_add_f16_e32 v30, v96, v31
	v_fmamk_f16 v99, v88, 0x3a21, v40
	v_fmamk_f16 v100, v90, 0x3a21, v85
	;; [unrolled: 1-line block ×4, first 2 shown]
	v_add_f16_e32 v32, v86, v40
	v_add_f16_e32 v79, v89, v85
	v_fmac_f16_e32 v92, 0x3aee, v78
	v_fmac_f16_e32 v98, 0xbaee, v78
	;; [unrolled: 1-line block ×4, first 2 shown]
	v_add_f16_e32 v29, v25, v40
	v_add_f16_e32 v78, v30, v85
	v_fmac_f16_e32 v40, 0x3a21, v81
	v_fmac_f16_e32 v85, 0x3a21, v82
	;; [unrolled: 1-line block ×8, first 2 shown]
	v_add_f16_e32 v102, v84, v34
	v_fmac_f16_e32 v99, -0.5, v86
	v_fmac_f16_e32 v100, -0.5, v89
	;; [unrolled: 1-line block ×6, first 2 shown]
	v_sub_f16_e32 v102, v102, v35
	v_fmac_f16_e32 v32, -0.5, v107
	v_fmac_f16_e32 v79, -0.5, v108
	v_fmac_f16_e32 v98, 0x3579, v35
	v_fmac_f16_e32 v99, 0xbb84, v81
	;; [unrolled: 1-line block ×10, first 2 shown]
	v_mul_f16_e32 v109, 0x3aee, v101
	v_mul_f16_e32 v110, 0x3aee, v102
	v_fmac_f16_e32 v32, 0x3aee, v102
	v_fmac_f16_e32 v79, 0xbaee, v101
	v_add_f16_e32 v31, v98, v99
	v_sub_f16_e32 v83, v100, v97
	v_add_f16_e32 v30, v92, v93
	v_sub_f16_e32 v84, v95, v91
	;; [unrolled: 2-line block ×3, first 2 shown]
	v_fma_f16 v33, -2.0, v110, v32
	v_fma_f16 v81, 2.0, v109, v79
	v_fma_f16 v34, -2.0, v98, v31
	v_fma_f16 v82, 2.0, v97, v83
	;; [unrolled: 2-line block ×3, first 2 shown]
	v_pack_b32_f16 v40, v29, v78
	v_fma_f16 v36, -2.0, v106, v35
	v_fma_f16 v86, 2.0, v105, v85
	v_pack_b32_f16 v89, v30, v84
	v_pack_b32_f16 v88, v32, v79
	;; [unrolled: 1-line block ×8, first 2 shown]
	ds_store_b32 v43, v40
	ds_store_b32 v43, v89 offset:476
	ds_store_2addr_b32 v41, v90, v88 offset0:110 offset1:229
	ds_store_2addr_b32 v87, v91, v92 offset0:74 offset1:193
	ds_store_b32 v43, v93 offset:3808
	ds_store_2addr_b32 v42, v94, v95 offset0:92 offset1:211
	global_wb scope:SCOPE_SE
	s_wait_dscnt 0x0
	s_barrier_signal -1
	s_barrier_wait -1
	global_inv scope:SCOPE_SE
	s_and_saveexec_b32 s1, vcc_lo
	s_cbranch_execz .LBB0_13
; %bb.12:
	global_load_b32 v40, v43, s[12:13] offset:4284
	s_add_nc_u64 s[2:3], s[12:13], 0x10bc
	s_clause 0xf
	global_load_b32 v42, v43, s[2:3] offset:252
	global_load_b32 v101, v43, s[2:3] offset:504
	;; [unrolled: 1-line block ×16, first 2 shown]
	ds_load_b32 v41, v43
	s_wait_dscnt 0x0
	v_lshrrev_b32_e32 v87, 16, v41
	s_wait_loadcnt 0xf
	v_lshrrev_b32_e32 v116, 16, v42
	s_wait_loadcnt 0xe
	;; [unrolled: 2-line block ×12, first 2 shown]
	v_lshrrev_b32_e32 v127, 16, v111
	v_lshrrev_b32_e32 v88, 16, v40
	s_wait_loadcnt 0x3
	v_lshrrev_b32_e32 v128, 16, v112
	s_wait_loadcnt 0x2
	v_lshrrev_b32_e32 v129, 16, v113
	s_wait_loadcnt 0x1
	v_lshrrev_b32_e32 v130, 16, v114
	s_wait_loadcnt 0x0
	v_lshrrev_b32_e32 v131, 16, v115
	v_mul_f16_e32 v89, v87, v88
	v_mul_f16_e32 v88, v41, v88
	s_delay_alu instid0(VALU_DEP_2) | instskip(NEXT) | instid1(VALU_DEP_2)
	v_fma_f16 v41, v41, v40, -v89
	v_fmac_f16_e32 v88, v87, v40
	s_delay_alu instid0(VALU_DEP_1)
	v_pack_b32_f16 v40, v41, v88
	ds_store_b32 v43, v40
	ds_load_2addr_b32 v[40:41], v43 offset0:63 offset1:126
	ds_load_2addr_b32 v[87:88], v43 offset0:189 offset1:252
	;; [unrolled: 1-line block ×8, first 2 shown]
	s_wait_dscnt 0x7
	v_lshrrev_b32_e32 v132, 16, v40
	v_lshrrev_b32_e32 v134, 16, v41
	s_wait_dscnt 0x6
	v_lshrrev_b32_e32 v136, 16, v87
	v_lshrrev_b32_e32 v138, 16, v88
	;; [unrolled: 3-line block ×5, first 2 shown]
	v_mul_f16_e64 v133, v40, v116
	v_mul_f16_e64 v135, v41, v117
	s_wait_dscnt 0x2
	v_lshrrev_b32_e32 v152, 16, v95
	v_lshrrev_b32_e32 v154, 16, v96
	s_wait_dscnt 0x1
	v_lshrrev_b32_e32 v156, 16, v97
	v_lshrrev_b32_e32 v158, 16, v98
	;; [unrolled: 3-line block ×3, first 2 shown]
	v_mul_f16_e64 v116, v132, v116
	v_mul_f16_e64 v117, v134, v117
	;; [unrolled: 1-line block ×24, first 2 shown]
	v_fmac_f16_e64 v133, v132, v42
	v_fmac_f16_e64 v135, v134, v101
	v_mul_f16_e64 v126, v152, v126
	v_mul_f16_e64 v127, v154, v127
	;; [unrolled: 1-line block ×6, first 2 shown]
	v_fma_f16 v40, v40, v42, -v116
	v_fma_f16 v41, v41, v101, -v117
	v_fmac_f16_e64 v137, v136, v102
	v_fmac_f16_e64 v139, v138, v103
	v_fma_f16 v42, v87, v102, -v118
	v_fma_f16 v87, v88, v103, -v119
	v_fmac_f16_e64 v141, v140, v104
	v_fmac_f16_e64 v143, v142, v105
	;; [unrolled: 4-line block ×5, first 2 shown]
	v_fmac_f16_e64 v157, v156, v112
	v_fmac_f16_e64 v159, v158, v113
	;; [unrolled: 1-line block ×4, first 2 shown]
	v_fma_f16 v94, v95, v110, -v126
	v_fma_f16 v95, v96, v111, -v127
	;; [unrolled: 1-line block ×6, first 2 shown]
	v_pack_b32_f16 v40, v40, v133
	v_pack_b32_f16 v41, v41, v135
	;; [unrolled: 1-line block ×16, first 2 shown]
	ds_store_2addr_b32 v43, v40, v41 offset0:63 offset1:126
	ds_store_2addr_b32 v43, v42, v87 offset0:189 offset1:252
	;; [unrolled: 1-line block ×8, first 2 shown]
.LBB0_13:
	s_wait_alu 0xfffe
	s_or_b32 exec_lo, exec_lo, s1
	global_wb scope:SCOPE_SE
	s_wait_dscnt 0x0
	s_barrier_signal -1
	s_barrier_wait -1
	global_inv scope:SCOPE_SE
	s_and_saveexec_b32 s1, vcc_lo
	s_cbranch_execz .LBB0_15
; %bb.14:
	v_add_nc_u32_e32 v17, 0x200, v43
	v_add_nc_u32_e32 v18, 0x400, v43
	v_add_nc_u32_e32 v23, 0x600, v43
	v_add_nc_u32_e32 v37, 0xc00, v43
	ds_load_2addr_b32 v[29:30], v43 offset1:63
	ds_load_2addr_b32 v[35:36], v17 offset0:124 offset1:187
	v_add_nc_u32_e32 v17, 0x800, v43
	ds_load_2addr_b32 v[33:34], v18 offset0:122 offset1:185
	v_add_nc_u32_e32 v18, 0xa00, v43
	ds_load_2addr_b32 v[31:32], v43 offset0:126 offset1:189
	ds_load_2addr_b32 v[25:26], v23 offset0:120 offset1:183
	;; [unrolled: 1-line block ×5, first 2 shown]
	ds_load_b32 v46, v43 offset:4032
	s_wait_dscnt 0x8
	v_lshrrev_b32_e32 v78, 16, v29
	v_lshrrev_b32_e32 v84, 16, v30
	s_wait_dscnt 0x7
	v_lshrrev_b32_e32 v85, 16, v35
	v_lshrrev_b32_e32 v86, 16, v36
	s_wait_dscnt 0x6
	v_lshrrev_b32_e32 v81, 16, v33
	s_wait_dscnt 0x5
	v_lshrrev_b32_e32 v83, 16, v31
	v_lshrrev_b32_e32 v79, 16, v32
	;; [unrolled: 1-line block ×3, first 2 shown]
	s_wait_dscnt 0x4
	v_lshrrev_b32_e32 v80, 16, v25
	v_lshrrev_b32_e32 v77, 16, v26
	s_wait_dscnt 0x3
	v_lshrrev_b32_e32 v75, 16, v27
	v_lshrrev_b32_e32 v74, 16, v28
	;; [unrolled: 3-line block ×4, first 2 shown]
	s_wait_dscnt 0x0
	v_lshrrev_b32_e32 v47, 16, v46
.LBB0_15:
	s_wait_alu 0xfffe
	s_or_b32 exec_lo, exec_lo, s1
	s_delay_alu instid0(VALU_DEP_1)
	v_add_f16_e32 v107, v47, v84
	v_sub_f16_e32 v88, v30, v46
	v_sub_f16_e32 v102, v84, v47
	v_add_f16_e32 v87, v46, v30
	v_sub_f16_e32 v104, v83, v48
	v_mul_f16_e64 v134, 0xb8d2, v107
	v_mul_f16_e32 v91, 0xbacd, v107
	v_mul_f16_e32 v93, 0xb1e1, v102
	;; [unrolled: 1-line block ×4, first 2 shown]
	v_fma_f16 v89, 0xba62, v88, v134
	v_mul_f16_e32 v125, 0xb1e1, v104
	v_mul_f16_e32 v122, 0x2de8, v107
	v_fma_f16 v37, v87, 0x2de8, -v120
	v_mul_f16_e64 v131, 0xba62, v102
	v_add_f16_e32 v92, v78, v89
	v_fmamk_f16 v89, v88, 0x3836, v91
	v_fma_f16 v39, v87, 0xb461, -v124
	v_add_f16_e32 v37, v29, v37
	v_mul_f16_e32 v94, 0xbbdd, v107
	v_fmac_f16_e32 v91, 0xb836, v88
	v_add_f16_e32 v95, v78, v89
	v_fmamk_f16 v89, v87, 0xbbdd, v93
	v_add_f16_e32 v111, v48, v83
	v_mul_f16_e64 v132, 0x3836, v104
	v_mul_f16_e32 v127, 0xb461, v107
	v_fmamk_f16 v38, v88, 0xbbf7, v122
	v_add_f16_e32 v98, v29, v89
	v_add_f16_e32 v89, v18, v31
	v_mul_f16_e32 v40, 0xb836, v102
	v_add_f16_e32 v39, v29, v39
	v_fma_f16 v42, v87, 0xb8d2, -v131
	v_fmamk_f16 v96, v88, 0x31e1, v94
	v_fma_f16 v99, v89, 0xbbdd, -v125
	v_add_f16_e32 v97, v78, v91
	v_fmac_f16_e32 v94, 0xb1e1, v88
	v_sub_f16_e32 v91, v31, v18
	v_mul_f16_e64 v128, 0xbbdd, v111
	v_add_f16_e32 v37, v99, v37
	v_fma_f16 v99, v89, 0xbacd, -v132
	v_mul_f16_e64 v139, 0x3bb2, v104
	v_add_f16_e32 v38, v78, v38
	v_fmamk_f16 v41, v88, 0xbbb2, v127
	v_fmamk_f16 v90, v87, 0xbacd, v40
	v_add_f16_e32 v42, v29, v42
	v_fma_f16 v40, v87, 0xbacd, -v40
	v_add_f16_e32 v100, v78, v94
	v_fma_f16 v94, 0xb1e1, v91, v128
	v_mul_f16_e64 v136, 0xbacd, v111
	v_add_f16_e32 v39, v99, v39
	v_fma_f16 v99, v89, 0xb461, -v139
	v_mul_f16_e32 v101, 0x3b29, v104
	v_add_f16_e32 v41, v78, v41
	v_add_f16_e32 v90, v29, v90
	v_add_f16_e32 v40, v29, v40
	v_add_f16_e32 v38, v94, v38
	v_mul_f16_e64 v143, 0xb461, v111
	v_fma_f16 v94, 0x3836, v91, v136
	v_add_f16_e32 v42, v99, v42
	v_fmamk_f16 v99, v89, 0x3722, v101
	v_mul_f16_e32 v105, 0x35c8, v104
	v_fma_f16 v101, v89, 0x3722, -v101
	v_fma_f16 v103, 0x3bb2, v91, v143
	v_add_f16_e32 v41, v94, v41
	v_mul_f16_e32 v94, 0x3722, v111
	v_add_f16_e32 v90, v99, v90
	v_fmamk_f16 v99, v89, 0x3b76, v105
	v_add_f16_e32 v40, v101, v40
	v_mul_f16_e32 v101, 0x3b76, v111
	v_add_f16_e32 v96, v78, v96
	v_fma_f16 v93, v87, 0xbbdd, -v93
	v_add_f16_e32 v103, v103, v92
	v_fmamk_f16 v92, v91, 0xbb29, v94
	v_fmac_f16_e32 v94, 0x3b29, v91
	v_add_f16_e32 v98, v99, v98
	v_sub_f16_e32 v109, v79, v49
	v_add_f16_e32 v115, v49, v79
	v_fmamk_f16 v99, v91, 0xb5c8, v101
	v_add_f16_e32 v93, v29, v93
	v_add_f16_e32 v95, v92, v95
	;; [unrolled: 1-line block ×4, first 2 shown]
	v_sub_f16_e32 v94, v32, v17
	v_mul_f16_e64 v133, 0x3bb2, v109
	v_mul_f16_e64 v135, 0xb461, v115
	v_add_f16_e32 v96, v99, v96
	v_fma_f16 v99, v89, 0x3b76, -v105
	v_fmac_f16_e32 v101, 0x35c8, v91
	v_mul_f16_e64 v140, 0x3964, v109
	v_fma_f16 v105, v92, 0xb461, -v133
	v_fma_f16 v106, 0x3bb2, v94, v135
	v_add_f16_e32 v93, v99, v93
	v_add_f16_e32 v99, v101, v100
	v_fma_f16 v100, v92, 0x39e9, -v140
	v_mul_f16_e64 v144, 0x39e9, v115
	v_mul_f16_e64 v147, 0xb5c8, v109
	;; [unrolled: 1-line block ×3, first 2 shown]
	v_add_f16_e32 v37, v105, v37
	v_add_f16_e32 v38, v106, v38
	v_add_f16_e32 v39, v100, v39
	v_fma_f16 v100, 0x3964, v94, v144
	v_fma_f16 v105, v92, 0x3b76, -v147
	v_fma_f16 v106, 0xb5c8, v94, v150
	v_mul_f16_e32 v110, 0x2de8, v115
	v_mul_f16_e32 v101, 0xbbf7, v109
	v_add_f16_e32 v41, v100, v41
	v_add_f16_e32 v42, v105, v42
	;; [unrolled: 1-line block ×3, first 2 shown]
	v_fmamk_f16 v103, v94, 0x3bf7, v110
	v_mul_f16_e32 v105, 0xb836, v109
	v_fmamk_f16 v108, v92, 0x2de8, v101
	v_mul_f16_e32 v106, 0xbacd, v115
	v_fma_f16 v101, v92, 0x2de8, -v101
	v_add_f16_e32 v95, v103, v95
	v_fmamk_f16 v103, v92, 0xbacd, v105
	v_sub_f16_e32 v112, v85, v76
	v_add_f16_e32 v116, v76, v85
	v_add_f16_e32 v90, v108, v90
	v_fmamk_f16 v108, v94, 0x3836, v106
	v_add_f16_e32 v40, v101, v40
	v_add_f16_e32 v98, v103, v98
	;; [unrolled: 1-line block ×3, first 2 shown]
	v_mul_f16_e64 v141, 0x35c8, v112
	v_fma_f16 v105, v92, 0xbacd, -v105
	v_fmac_f16_e32 v106, 0xb836, v94
	v_sub_f16_e32 v103, v35, v24
	v_mul_f16_e64 v142, 0x3b76, v116
	v_mul_f16_e64 v145, 0xbb29, v112
	v_add_f16_e32 v96, v108, v96
	v_fma_f16 v108, v101, 0x3b76, -v141
	v_add_f16_e32 v93, v105, v93
	v_add_f16_e32 v99, v106, v99
	v_fma_f16 v105, 0x35c8, v103, v142
	v_mul_f16_e64 v149, 0x3722, v116
	v_fma_f16 v106, v101, 0x3722, -v145
	v_mul_f16_e64 v151, 0xb836, v112
	v_fmac_f16_e32 v110, 0xbbf7, v94
	v_add_f16_e32 v37, v108, v37
	v_add_f16_e32 v38, v105, v38
	v_mul_f16_e64 v154, 0xbacd, v116
	v_fma_f16 v105, 0xbb29, v103, v149
	v_add_f16_e32 v39, v106, v39
	v_fma_f16 v106, v101, 0xbacd, -v151
	v_mul_f16_e32 v108, 0x3a62, v112
	v_add_f16_e32 v97, v110, v97
	v_fma_f16 v110, 0xb836, v103, v154
	v_add_f16_e32 v41, v105, v41
	v_mul_f16_e32 v105, 0xb8d2, v116
	v_add_f16_e32 v42, v106, v42
	v_fmamk_f16 v106, v101, 0xb8d2, v108
	v_fma_f16 v108, v101, 0xb8d2, -v108
	v_add_f16_e32 v100, v110, v100
	v_mul_f16_e32 v110, 0x3964, v112
	v_fmamk_f16 v113, v103, 0xba62, v105
	v_fmac_f16_e32 v105, 0x3a62, v103
	v_add_f16_e32 v40, v108, v40
	v_mul_f16_e32 v108, 0x39e9, v116
	v_sub_f16_e32 v118, v86, v73
	v_add_f16_e32 v90, v106, v90
	v_fmamk_f16 v106, v101, 0x39e9, v110
	v_add_f16_e32 v95, v113, v95
	v_add_f16_e32 v97, v105, v97
	;; [unrolled: 1-line block ×3, first 2 shown]
	v_fmamk_f16 v113, v103, 0xb964, v108
	v_add_f16_e32 v105, v23, v36
	v_mul_f16_e64 v146, 0xbb29, v118
	v_fmac_f16_e32 v108, 0x3964, v103
	v_mul_f16_e64 v152, 0xb1e1, v118
	v_add_f16_e32 v98, v106, v98
	v_sub_f16_e32 v106, v36, v23
	v_mul_f16_e64 v148, 0x3722, v121
	v_add_f16_e32 v96, v113, v96
	v_fma_f16 v113, v105, 0x3722, -v146
	v_add_f16_e32 v99, v108, v99
	v_fma_f16 v108, v105, 0xbbdd, -v152
	v_mul_f16_e64 v156, 0xbbdd, v121
	v_mul_f16_e64 v158, 0x3bf7, v118
	v_fma_f16 v110, v101, 0x39e9, -v110
	v_fma_f16 v114, 0xbb29, v106, v148
	v_add_f16_e32 v37, v113, v37
	v_mul_f16_e64 v161, 0x2de8, v121
	v_add_f16_e32 v39, v108, v39
	v_fma_f16 v108, 0xb1e1, v106, v156
	v_fma_f16 v113, v105, 0x2de8, -v158
	v_mul_f16_e32 v119, 0x3b76, v121
	v_add_f16_e32 v93, v110, v93
	v_add_f16_e32 v38, v114, v38
	v_mul_f16_e32 v110, 0xb5c8, v118
	v_fma_f16 v114, 0x3bf7, v106, v161
	v_add_f16_e32 v41, v108, v41
	v_add_f16_e32 v42, v113, v42
	v_fmamk_f16 v108, v106, 0x35c8, v119
	v_mul_f16_e32 v113, 0xba62, v118
	v_fmamk_f16 v117, v105, 0x3b76, v110
	v_add_f16_e32 v100, v114, v100
	v_mul_f16_e32 v114, 0xb8d2, v121
	v_fma_f16 v110, v105, 0x3b76, -v110
	v_add_f16_e32 v95, v108, v95
	v_fmamk_f16 v108, v105, 0xb8d2, v113
	v_sub_f16_e32 v123, v81, v74
	v_add_f16_e32 v126, v74, v81
	v_add_f16_e32 v90, v117, v90
	v_fmamk_f16 v117, v106, 0x3a62, v114
	v_add_f16_e32 v40, v110, v40
	v_add_f16_e32 v98, v108, v98
	;; [unrolled: 1-line block ×3, first 2 shown]
	v_mul_f16_e64 v153, 0xb836, v123
	v_fma_f16 v113, v105, 0xb8d2, -v113
	v_fmac_f16_e32 v114, 0xba62, v106
	v_sub_f16_e32 v110, v33, v28
	v_mul_f16_e64 v155, 0xbacd, v126
	v_mul_f16_e64 v157, 0x3bf7, v123
	v_fmac_f16_e32 v119, 0xb5c8, v106
	v_add_f16_e32 v96, v117, v96
	v_fma_f16 v117, v108, 0xbacd, -v153
	v_add_f16_e32 v93, v113, v93
	v_add_f16_e32 v99, v114, v99
	v_fma_f16 v113, 0xb836, v110, v155
	v_mul_f16_e64 v162, 0x2de8, v126
	v_fma_f16 v114, v108, 0x2de8, -v157
	v_mul_f16_e64 v165, 0xb964, v123
	v_mul_f16_e64 v168, 0x39e9, v126
	v_add_f16_e32 v97, v119, v97
	v_add_f16_e32 v37, v117, v37
	;; [unrolled: 1-line block ×3, first 2 shown]
	v_fma_f16 v113, 0x3bf7, v110, v162
	v_add_f16_e32 v39, v114, v39
	v_fma_f16 v114, v108, 0x39e9, -v165
	v_mul_f16_e32 v117, 0xb1e1, v123
	v_fma_f16 v119, 0xb964, v110, v168
	v_add_f16_e32 v41, v113, v41
	v_mul_f16_e32 v113, 0xbbdd, v126
	v_add_f16_e32 v42, v114, v42
	v_fmamk_f16 v114, v108, 0xbbdd, v117
	v_add_f16_e32 v100, v119, v100
	v_mul_f16_e32 v119, 0x3b29, v123
	v_fma_f16 v129, 0x31e1, v110, v113
	v_add_f16_e64 v130, v75, v82
	v_add_f16_e32 v90, v114, v90
	v_fma_f16 v117, v108, 0xbbdd, -v117
	v_fmamk_f16 v114, v108, 0x3722, v119
	v_fmac_f16_e32 v113, 0xb1e1, v110
	v_add_f16_e64 v95, v129, v95
	v_sub_f16_e64 v129, v82, v75
	v_mul_f16_e64 v160, 0xb8d2, v130
	v_add_f16_e32 v98, v114, v98
	v_sub_f16_e32 v114, v34, v27
	v_add_f16_e32 v40, v117, v40
	v_mul_f16_e32 v117, 0x3722, v126
	v_add_f16_e32 v97, v113, v97
	v_add_f16_e32 v113, v27, v34
	v_fma_f16 v138, 0x3a62, v114, v160
	v_mul_f16_e64 v164, 0xb5c8, v129
	v_fma_f16 v137, 0xbb29, v110, v117
	v_mul_f16_e64 v159, 0x3a62, v129
	v_fma_f16 v119, v108, 0x3722, -v119
	v_fmac_f16_e32 v117, 0x3b29, v110
	v_add_f16_e64 v173, v138, v38
	v_fma_f16 v38, v113, 0x3b76, -v164
	v_mul_f16_e64 v167, 0x3b76, v130
	v_mul_f16_e64 v170, 0xb1e1, v129
	v_add_f16_e64 v96, v137, v96
	v_fma_f16 v137, v113, 0xb8d2, -v159
	v_add_f16_e32 v93, v119, v93
	v_add_f16_e32 v99, v117, v99
	v_mul_f16_e64 v172, 0xbbdd, v130
	v_mul_f16_e64 v117, 0x3964, v129
	v_add_f16_e32 v39, v38, v39
	v_fma_f16 v38, 0xb5c8, v114, v167
	v_fma_f16 v119, v113, 0xbbdd, -v170
	v_mul_f16_e64 v163, 0x39e9, v130
	v_add_f16_e64 v37, v137, v37
	v_fma_f16 v137, 0xb1e1, v114, v172
	v_fma_f16 v138, 0x39e9, v113, v117
	v_add_f16_e32 v41, v38, v41
	v_add_f16_e32 v42, v119, v42
	v_fma_f16 v38, 0xb964, v114, v163
	v_mul_f16_e64 v119, 0xbbb2, v129
	v_add_f16_e64 v100, v137, v100
	v_add_f16_e64 v90, v138, v90
	v_fma_f16 v117, v113, 0x39e9, -v117
	v_fmac_f16_e64 v163, 0x3964, v114
	v_add_f16_e64 v175, v38, v95
	v_fmamk_f16 v38, v113, 0xb461, v119
	v_sub_f16_e64 v137, v80, v77
	v_add_f16_e64 v138, v77, v80
	v_mul_f16_e64 v171, 0xb461, v130
	v_add_f16_e64 v176, v117, v40
	v_add_f16_e64 v177, v163, v97
	;; [unrolled: 1-line block ×3, first 2 shown]
	v_add_f16_e32 v117, v26, v25
	v_mul_f16_e64 v163, 0x3964, v137
	v_fma_f16 v38, v113, 0xb461, -v119
	v_sub_f16_e32 v119, v25, v26
	v_mul_f16_e64 v166, 0x39e9, v138
	v_fma_f16 v95, 0x3bb2, v114, v171
	v_fmac_f16_e64 v171, 0xbbb2, v114
	v_fma_f16 v40, v117, 0x39e9, -v163
	v_mul_f16_e64 v169, 0xba62, v137
	v_add_f16_e64 v180, v38, v93
	v_fma_f16 v93, 0x3964, v119, v166
	v_add_f16_e64 v99, v171, v99
	v_add_f16_e32 v38, v40, v37
	v_fma_f16 v37, v117, 0xb8d2, -v169
	v_mul_f16_e64 v171, 0xb8d2, v138
	v_add_f16_e64 v97, v93, v173
	v_mul_f16_e64 v173, 0x3b29, v137
	v_mul_f16_e64 v174, 0x3722, v138
	v_add_f16_e64 v179, v95, v96
	v_add_f16_e32 v37, v37, v39
	v_fma_f16 v39, 0xba62, v119, v171
	v_mul_f16_e64 v93, 0xbbb2, v137
	v_fma_f16 v40, v117, 0x3722, -v173
	v_fma_f16 v95, 0x3b29, v119, v174
	v_mul_f16_e64 v98, 0xb461, v138
	v_add_f16_e32 v96, v39, v41
	v_fmamk_f16 v39, v117, 0xb461, v93
	v_add_f16_e32 v40, v40, v42
	v_add_f16_e32 v95, v95, v100
	v_fmamk_f16 v41, v119, 0x3bb2, v98
	v_fma_f16 v42, v117, 0xb461, -v93
	v_mul_f16_e64 v100, 0x3bf7, v137
	v_mul_f16_e64 v181, 0x2de8, v138
	v_add_f16_e32 v90, v39, v90
	v_add_f16_e64 v93, v41, v175
	v_add_f16_e64 v39, v42, v176
	v_fmac_f16_e32 v98, 0xbbb2, v119
	v_fmamk_f16 v41, v117, 0x2de8, v100
	v_fma_f16 v42, 0xbbf7, v119, v181
	v_fma_f16 v175, v117, 0x2de8, -v100
	v_fmac_f16_e64 v181, 0x3bf7, v119
	v_add_f16_e64 v98, v98, v177
	v_add_f16_e64 v41, v41, v178
	;; [unrolled: 1-line block ×5, first 2 shown]
	global_wb scope:SCOPE_SE
	s_barrier_signal -1
	s_barrier_wait -1
	global_inv scope:SCOPE_SE
	s_and_saveexec_b32 s1, vcc_lo
	s_cbranch_execz .LBB0_17
; %bb.16:
	v_mul_f16_e64 v180, 0xba62, v88
	v_mul_f16_e64 v179, 0xb8d2, v87
	;; [unrolled: 1-line block ×5, first 2 shown]
	v_sub_f16_e64 v134, v134, v180
	v_mul_f16_e64 v192, 0xb5c8, v94
	v_sub_f16_e64 v143, v143, v186
	v_add_f16_e64 v131, v179, v131
	v_mul_f16_e64 v184, 0x3836, v91
	v_add_f16_e64 v134, v78, v134
	v_mul_f16_e64 v191, 0x3b76, v92
	v_mul_f16_e64 v198, 0xb836, v103
	v_add_f16_e64 v131, v29, v131
	v_add_f16_e64 v139, v185, v139
	;; [unrolled: 1-line block ×3, first 2 shown]
	v_sub_f16_e64 v143, v150, v192
	v_sub_f16_e64 v127, v127, v178
	v_mul_f16_e64 v190, 0x3964, v94
	v_mul_f16_e64 v197, 0xbacd, v101
	;; [unrolled: 1-line block ×3, first 2 shown]
	v_add_f16_e64 v134, v143, v134
	v_sub_f16_e64 v143, v154, v198
	v_add_f16_e64 v131, v139, v131
	v_add_f16_e64 v139, v191, v147
	v_add_f16_e32 v127, v78, v127
	v_sub_f16_e64 v136, v136, v184
	v_mul_f16_e64 v196, 0xbb29, v103
	v_mul_f16_e64 v203, 0x2de8, v105
	;; [unrolled: 1-line block ×3, first 2 shown]
	v_add_f16_e64 v134, v143, v134
	v_sub_f16_e64 v143, v161, v204
	v_add_f16_e64 v131, v139, v131
	v_add_f16_e64 v139, v197, v151
	;; [unrolled: 1-line block ×3, first 2 shown]
	v_sub_f16_e64 v136, v144, v190
	v_mul_f16_e64 v177, 0xb461, v87
	v_mul_f16_e64 v202, 0xb1e1, v106
	;; [unrolled: 1-line block ×4, first 2 shown]
	v_add_f16_e64 v134, v143, v134
	v_sub_f16_e64 v143, v168, v186
	v_add_f16_e64 v131, v139, v131
	v_add_f16_e64 v139, v203, v158
	;; [unrolled: 1-line block ×3, first 2 shown]
	v_sub_f16_e64 v136, v149, v196
	v_mul_f16_e64 v176, 0xbbf7, v88
	v_mul_f16_e64 v183, 0xbacd, v89
	;; [unrolled: 1-line block ×4, first 2 shown]
	v_add_f16_e64 v134, v143, v134
	v_sub_f16_e64 v143, v172, v212
	v_mul_f16_e64 v151, 0x3b29, v119
	v_add_f16_e64 v131, v139, v131
	v_add_f16_e64 v139, v208, v165
	;; [unrolled: 1-line block ×4, first 2 shown]
	v_sub_f16_e64 v136, v156, v202
	v_mul_f16_e64 v182, 0xb1e1, v91
	v_mul_f16_e64 v189, 0x39e9, v92
	;; [unrolled: 1-line block ×3, first 2 shown]
	v_add_f16_e64 v134, v143, v134
	v_sub_f16_e64 v143, v174, v151
	v_add_f16_e64 v131, v139, v131
	v_add_f16_e64 v139, v192, v170
	;; [unrolled: 1-line block ×5, first 2 shown]
	v_sub_f16_e64 v136, v162, v207
	v_sub_f16_e64 v122, v122, v176
	v_mul_f16_e64 v188, 0x3bb2, v94
	v_mul_f16_e64 v195, 0x3722, v101
	v_add_f16_e64 v124, v143, v134
	v_add_f16_e64 v131, v139, v131
	;; [unrolled: 1-line block ×7, first 2 shown]
	v_sub_f16_e64 v128, v128, v182
	v_mul_f16_e64 v175, 0x2de8, v87
	v_mul_f16_e64 v194, 0x35c8, v103
	;; [unrolled: 1-line block ×4, first 2 shown]
	v_add_f16_e64 v132, v134, v132
	v_add_f16_e64 v134, v195, v145
	;; [unrolled: 1-line block ×4, first 2 shown]
	v_sub_f16_e64 v131, v135, v188
	v_mul_f16_e64 v181, 0xbbdd, v89
	v_mul_f16_e64 v200, 0xbb29, v106
	;; [unrolled: 1-line block ×4, first 2 shown]
	v_sub_f16_e64 v140, v167, v150
	v_add_f16_e64 v132, v134, v132
	v_add_f16_e64 v134, v201, v152
	;; [unrolled: 1-line block ×4, first 2 shown]
	v_sub_f16_e64 v131, v142, v194
	v_mul_f16_e64 v187, 0xb461, v92
	v_mul_f16_e64 v180, 0xb836, v110
	;; [unrolled: 1-line block ×3, first 2 shown]
	v_add_f16_e64 v127, v140, v127
	v_add_f16_e64 v132, v134, v132
	v_add_f16_e64 v134, v206, v157
	v_sub_f16_e64 v135, v171, v185
	v_add_f16_e32 v120, v29, v120
	v_add_f16_e64 v125, v181, v125
	v_add_f16_e64 v128, v131, v128
	v_sub_f16_e64 v131, v148, v200
	v_mul_f16_e64 v161, 0xb8d2, v117
	v_add_f16_e64 v132, v134, v132
	v_add_f16_e64 v134, v211, v164
	v_add_f16_e32 v125, v125, v120
	v_add_f16_e64 v133, v187, v133
	v_add_f16_e64 v120, v135, v127
	;; [unrolled: 1-line block ×3, first 2 shown]
	v_sub_f16_e64 v128, v155, v180
	v_mul_f16_e64 v210, 0x3a62, v114
	v_add_f16_e64 v131, v134, v132
	v_add_f16_e64 v125, v133, v125
	;; [unrolled: 1-line block ×4, first 2 shown]
	v_mul_f16_e64 v128, 0x3722, v107
	v_sub_f16_e64 v134, v160, v210
	v_mul_f16_e64 v135, 0xb8d2, v111
	v_add_f16_e64 v131, v133, v131
	v_mul_f16_e64 v179, 0x3964, v119
	v_fma_f16 v133, 0x3b29, v88, v128
	v_add_f16_e64 v127, v134, v127
	v_fma_f16 v134, 0x3a62, v91, v135
	v_mul_f16_e64 v136, 0xbbdd, v115
	v_sub_f16_e64 v139, v166, v179
	v_add_f16_e64 v133, v78, v133
	v_mul_f16_e64 v140, 0xb461, v116
	v_mul_f16_e64 v193, 0x3b76, v101
	;; [unrolled: 1-line block ×3, first 2 shown]
	v_add_f16_e64 v127, v139, v127
	v_add_f16_e64 v133, v134, v133
	v_fma_f16 v134, 0xb1e1, v94, v136
	v_mul_f16_e64 v139, 0x39e9, v121
	v_mul_f16_e64 v199, 0x3722, v105
	v_add_f16_e64 v132, v193, v141
	v_mul_f16_e64 v147, 0x2de8, v130
	v_add_f16_e64 v133, v134, v133
	v_fma_f16 v134, 0xbbb2, v103, v140
	v_mul_f16_e64 v205, 0xbacd, v108
	v_add_f16_e64 v125, v132, v125
	v_add_f16_e64 v132, v199, v146
	v_mul_f16_e64 v149, 0x39e9, v107
	v_add_f16_e64 v133, v134, v133
	v_fma_f16 v134, 0xb964, v106, v139
	v_mul_f16_e64 v156, 0xb8d2, v115
	v_add_f16_e64 v125, v132, v125
	v_add_f16_e64 v132, v205, v153
	v_fma_f16 v152, 0x3964, v88, v149
	v_add_f16_e64 v133, v134, v133
	v_fma_f16 v134, 0x35c8, v110, v144
	v_mul_f16_e64 v153, 0x2de8, v111
	v_mul_f16_e64 v158, 0xbacd, v121
	v_add_f16_e64 v152, v78, v152
	v_mul_f16_e64 v162, 0xb461, v126
	v_add_f16_e64 v133, v134, v133
	v_fma_f16 v134, 0x3bf7, v114, v147
	v_fma_f16 v155, 0x3bf7, v91, v153
	v_mul_f16_e64 v165, 0x3722, v130
	v_mul_f16_e32 v107, 0x3b76, v107
	v_add_f16_e32 v30, v30, v29
	v_add_f16_e64 v133, v134, v133
	v_mul_f16_e64 v134, 0xbacd, v138
	v_mul_f16_e32 v111, 0x39e9, v111
	v_fma_f16 v169, 0x35c8, v88, v107
	v_add_f16_e32 v30, v31, v30
	v_add_f16_e32 v31, v84, v78
	v_fma_f16 v151, 0x3836, v119, v134
	v_fma_f16 v171, 0x3964, v91, v111
	v_add_f16_e64 v169, v78, v169
	v_mul_f16_e32 v115, 0x3722, v115
	v_add_f16_e32 v30, v32, v30
	v_add_f16_e64 v133, v151, v133
	v_add_f16_e64 v151, v155, v152
	v_fma_f16 v152, 0x3a62, v94, v156
	v_mul_f16_e64 v155, 0xbbdd, v116
	v_add_f16_e32 v31, v83, v31
	v_mul_f16_e32 v116, 0x2de8, v116
	v_add_f16_e32 v30, v35, v30
	v_add_f16_e64 v151, v152, v151
	v_fma_f16 v152, 0x31e1, v103, v155
	v_add_f16_e32 v31, v79, v31
	v_fmamk_f16 v84, v103, 0x3bf7, v116
	v_mul_f16_e32 v121, 0xb461, v121
	v_add_f16_e32 v30, v36, v30
	v_add_f16_e64 v151, v152, v151
	v_fma_f16 v152, 0xb836, v106, v158
	v_add_f16_e32 v31, v85, v31
	v_fmamk_f16 v83, v106, 0x3bb2, v121
	;; [unrolled: 6-line block ×3, first 2 shown]
	v_add_f16_e32 v30, v34, v30
	v_mul_f16_e32 v86, 0xbb29, v109
	v_add_f16_e64 v151, v152, v151
	v_fma_f16 v152, 0xbb29, v114, v165
	v_add_f16_e32 v31, v81, v31
	v_add_f16_e32 v33, v29, v36
	;; [unrolled: 1-line block ×3, first 2 shown]
	v_fmamk_f16 v34, v92, 0x3722, v86
	v_add_f16_e64 v151, v152, v151
	v_mul_f16_e64 v152, 0x3b76, v138
	v_add_f16_e32 v30, v82, v31
	v_mul_f16_e32 v31, 0xbbf7, v112
	v_add_f16_e32 v25, v26, v25
	v_mul_f16_e64 v209, 0xb8d2, v113
	v_fma_f16 v168, 0xb5c8, v119, v152
	v_add_f16_e32 v26, v80, v30
	v_fmamk_f16 v30, v101, 0x2de8, v31
	v_add_f16_e32 v25, v27, v25
	v_mul_f16_e32 v79, 0xb8d2, v126
	v_add_f16_e64 v151, v168, v151
	v_add_f16_e64 v168, v171, v169
	v_fma_f16 v169, 0x3b29, v94, v115
	v_add_f16_e32 v26, v77, v26
	v_add_f16_e32 v25, v28, v25
	v_add_f16_e64 v125, v132, v125
	v_add_f16_e64 v132, v209, v159
	;; [unrolled: 1-line block ×3, first 2 shown]
	v_add_f16_e32 v26, v75, v26
	v_fmamk_f16 v85, v110, 0x3a62, v79
	v_add_f16_e32 v23, v23, v25
	v_add_f16_e64 v125, v132, v125
	v_add_f16_e64 v32, v84, v168
	v_add_f16_e32 v25, v74, v26
	v_mul_f16_e64 v26, 0xb836, v129
	v_mul_f16_e64 v132, 0xbb29, v102
	v_add_f16_e32 v23, v24, v23
	v_add_f16_e32 v32, v83, v32
	v_mul_f16_e32 v83, 0xb964, v104
	v_add_f16_e32 v24, v73, v25
	v_fmamk_f16 v25, v113, 0xbacd, v26
	v_fma_f16 v142, 0x3722, v87, v132
	v_add_f16_e32 v32, v85, v32
	v_fmamk_f16 v36, v89, 0x39e9, v83
	v_mul_f16_e64 v143, 0xba62, v104
	v_add_f16_e32 v17, v17, v23
	v_add_f16_e32 v23, v76, v24
	v_mul_f16_e64 v154, 0x39e9, v117
	v_add_f16_e32 v33, v36, v33
	v_mul_f16_e64 v36, 0xbacd, v130
	v_add_f16_e64 v142, v29, v142
	v_fma_f16 v145, 0xb8d2, v89, v143
	v_mul_f16_e64 v146, 0x31e1, v109
	v_add_f16_e32 v33, v34, v33
	v_mul_f16_e32 v34, 0xbbb2, v118
	v_fmamk_f16 v80, v114, 0x3836, v36
	v_add_f16_e32 v17, v18, v17
	v_add_f16_e32 v18, v49, v23
	;; [unrolled: 1-line block ×3, first 2 shown]
	v_fmamk_f16 v30, v105, 0xb461, v34
	v_mul_f16_e32 v33, 0xba62, v123
	v_add_f16_e32 v28, v80, v32
	v_mul_f16_e64 v32, 0xbbdd, v138
	v_add_f16_e64 v141, v154, v163
	v_add_f16_e32 v27, v30, v27
	v_fmamk_f16 v30, v108, 0xb8d2, v33
	v_add_f16_e64 v142, v145, v142
	v_fmamk_f16 v73, v119, 0x31e1, v32
	v_fma_f16 v145, 0xbbdd, v92, v146
	v_mul_f16_e64 v148, 0x3bb2, v112
	v_add_f16_e32 v27, v30, v27
	v_mul_f16_e64 v30, 0xb1e1, v137
	v_fmac_f16_e64 v149, 0xb964, v88
	v_add_f16_e64 v125, v141, v125
	v_add_f16_e64 v141, v145, v142
	v_add_f16_e32 v24, v25, v27
	v_fmamk_f16 v25, v117, 0xbbdd, v30
	v_add_f16_e32 v27, v73, v28
	v_fma_f16 v28, v89, 0xb8d2, -v143
	v_fma_f16 v142, 0xb461, v101, v148
	v_mul_f16_e64 v145, 0x3964, v118
	v_add_f16_e32 v23, v25, v24
	v_fma_f16 v24, v87, 0x3722, -v132
	v_add_f16_e32 v17, v46, v17
	v_add_f16_e64 v46, v78, v149
	v_fmac_f16_e64 v153, 0xbbf7, v91
	v_add_f16_e64 v141, v142, v141
	v_add_f16_e32 v24, v29, v24
	v_fma_f16 v142, 0x39e9, v105, v145
	v_mul_f16_e64 v150, 0xb5c8, v123
	v_add_f16_e64 v46, v153, v46
	v_fmac_f16_e64 v156, 0xba62, v94
	v_add_f16_e32 v24, v28, v24
	v_fma_f16 v28, v92, 0xbbdd, -v146
	v_add_f16_e64 v141, v142, v141
	v_fma_f16 v142, 0x3b76, v108, v150
	v_mul_f16_e64 v154, 0xbbf7, v129
	v_mul_f16_e64 v157, 0xb964, v102
	v_add_f16_e32 v24, v28, v24
	v_fma_f16 v28, v101, 0xb461, -v148
	v_add_f16_e64 v46, v156, v46
	v_fmac_f16_e64 v155, 0xb1e1, v103
	v_add_f16_e64 v141, v142, v141
	v_fma_f16 v142, 0x2de8, v113, v154
	v_add_f16_e32 v24, v28, v24
	v_fma_f16 v28, v105, 0x39e9, -v145
	v_fma_f16 v160, 0x39e9, v87, v157
	v_mul_f16_e64 v161, 0xbbf7, v104
	v_add_f16_e64 v46, v155, v46
	v_fmac_f16_e64 v158, 0x3836, v106
	v_add_f16_e32 v24, v28, v24
	v_fma_f16 v28, v108, 0x3b76, -v150
	v_add_f16_e64 v141, v142, v141
	v_mul_f16_e64 v142, 0xb836, v137
	v_add_f16_e64 v160, v29, v160
	v_fma_f16 v163, 0x2de8, v89, v161
	v_mul_f16_e64 v164, 0xba62, v109
	v_add_f16_e32 v18, v48, v18
	v_add_f16_e32 v24, v28, v24
	v_fma_f16 v28, v113, 0x2de8, -v154
	v_add_f16_e64 v46, v158, v46
	v_fmac_f16_e64 v162, 0x3bb2, v110
	v_fma_f16 v159, 0xbacd, v117, v142
	v_add_f16_e64 v160, v163, v160
	v_fma_f16 v163, 0xb8d2, v92, v164
	v_mul_f16_e64 v166, 0xb1e1, v112
	v_add_f16_e32 v18, v47, v18
	v_add_f16_e32 v24, v28, v24
	v_fma_f16 v28, v117, 0xbacd, -v142
	v_add_f16_e64 v46, v162, v46
	v_fmac_f16_e64 v165, 0x3b29, v114
	v_fma_f16 v47, v87, 0x39e9, -v157
	v_fmac_f16_e64 v128, 0xbb29, v88
	v_fmac_f16_e32 v107, 0xb5c8, v88
	v_fma_f16 v35, v87, 0x3b76, -v35
	v_add_f16_e64 v141, v159, v141
	v_add_f16_e64 v159, v163, v160
	v_fma_f16 v160, 0xbbdd, v101, v166
	v_mul_f16_e64 v163, 0x3836, v118
	v_add_f16_e32 v24, v28, v24
	v_add_f16_e64 v28, v165, v46
	v_add_f16_e32 v46, v29, v47
	v_fma_f16 v47, v89, 0x2de8, -v161
	v_add_f16_e64 v25, v78, v128
	v_fmac_f16_e64 v135, 0xba62, v91
	v_add_f16_e32 v48, v78, v107
	v_fmac_f16_e32 v111, 0xb964, v91
	v_add_f16_e32 v29, v29, v35
	v_fma_f16 v35, v89, 0x39e9, -v83
	v_add_f16_e64 v159, v160, v159
	v_fma_f16 v160, 0xbacd, v105, v163
	v_mul_f16_e64 v167, 0x3bb2, v123
	v_add_f16_e32 v46, v47, v46
	v_fma_f16 v47, v92, 0xb8d2, -v164
	v_add_f16_e64 v25, v135, v25
	v_fmac_f16_e64 v136, 0x31e1, v94
	v_add_f16_e32 v48, v111, v48
	v_fmac_f16_e32 v115, 0xbb29, v94
	v_add_f16_e32 v29, v35, v29
	v_fma_f16 v35, v92, 0x3722, -v86
	v_add_f16_e64 v159, v160, v159
	v_fma_f16 v160, 0xb461, v108, v167
	v_mul_f16_e64 v170, 0x3b29, v129
	v_add_f16_e32 v46, v47, v46
	v_fma_f16 v47, v101, 0xbbdd, -v166
	v_add_f16_e64 v25, v136, v25
	v_fmac_f16_e64 v140, 0x3bb2, v103
	v_add_f16_e32 v48, v115, v48
	v_fmac_f16_e32 v116, 0xbbf7, v103
	v_add_f16_e32 v29, v35, v29
	v_fma_f16 v31, v101, 0x2de8, -v31
	v_add_f16_e64 v159, v160, v159
	v_fma_f16 v160, 0x3722, v113, v170
	v_add_f16_e32 v46, v47, v46
	v_fma_f16 v47, v105, 0xbacd, -v163
	v_add_f16_e64 v25, v140, v25
	v_fmac_f16_e64 v139, 0x3964, v106
	v_add_f16_e32 v48, v116, v48
	v_fmac_f16_e32 v121, 0xbbb2, v106
	v_add_f16_e32 v29, v31, v29
	v_fma_f16 v31, v105, 0xb461, -v34
	v_add_f16_e64 v159, v160, v159
	v_mul_f16_e64 v160, 0x35c8, v137
	v_add_f16_e32 v35, v47, v46
	v_fma_f16 v46, v108, 0xb461, -v167
	v_add_f16_e64 v25, v139, v25
	v_fmac_f16_e64 v144, 0xb5c8, v110
	v_add_f16_e32 v47, v121, v48
	v_fmac_f16_e32 v79, 0xba62, v110
	v_add_f16_e32 v29, v31, v29
	v_fma_f16 v31, v108, 0xb8d2, -v33
	v_fma_f16 v169, 0x3b76, v117, v160
	v_add_f16_e32 v34, v46, v35
	v_fma_f16 v35, v113, 0x3722, -v170
	v_add_f16_e64 v25, v144, v25
	v_fmac_f16_e64 v147, 0xbbf7, v114
	v_add_f16_e32 v46, v79, v47
	v_fmac_f16_e32 v36, 0xb836, v114
	v_add_f16_e32 v29, v31, v29
	v_fma_f16 v26, v113, 0xbacd, -v26
	v_and_b32_e32 v31, 0xffff, v45
	v_add_f16_e64 v84, v169, v159
	v_add_f16_e32 v33, v35, v34
	v_fma_f16 v34, v117, 0x3b76, -v160
	v_add_f16_e64 v25, v147, v25
	v_fmac_f16_e64 v134, 0xb836, v119
	v_fmac_f16_e64 v152, 0x35c8, v119
	v_add_f16_e32 v35, v36, v46
	v_fmac_f16_e32 v32, 0xb1e1, v119
	v_add_f16_e32 v26, v26, v29
	v_fma_f16 v29, v117, 0xbbdd, -v30
	v_lshlrev_b32_e32 v30, 2, v31
	v_pack_b32_f16 v23, v23, v27
	v_pack_b32_f16 v17, v17, v18
	;; [unrolled: 1-line block ×4, first 2 shown]
	v_add_f16_e32 v33, v34, v33
	v_pack_b32_f16 v31, v131, v120
	v_pack_b32_f16 v34, v125, v127
	v_add_f16_e64 v25, v134, v25
	v_add_f16_e64 v28, v152, v28
	v_add_f16_e32 v32, v32, v35
	v_pack_b32_f16 v35, v122, v124
	v_perm_b32 v36, v93, v90, 0x5040100
	v_add_f16_e32 v26, v29, v26
	ds_store_2addr_b32 v30, v17, v23 offset1:1
	ds_store_2addr_b32 v30, v27, v18 offset0:2 offset1:3
	ds_store_2addr_b32 v30, v34, v31 offset0:4 offset1:5
	;; [unrolled: 1-line block ×3, first 2 shown]
	v_perm_b32 v17, v99, v42, 0x5040100
	v_perm_b32 v18, v100, v41, 0x5040100
	v_perm_b32 v23, v95, v40, 0x5040100
	v_perm_b32 v27, v98, v39, 0x5040100
	v_perm_b32 v29, v97, v38, 0x5040100
	v_perm_b32 v31, v96, v37, 0x5040100
	v_pack_b32_f16 v28, v33, v28
	v_pack_b32_f16 v24, v24, v25
	;; [unrolled: 1-line block ×3, first 2 shown]
	ds_store_2addr_b32 v30, v18, v17 offset0:8 offset1:9
	ds_store_2addr_b32 v30, v27, v23 offset0:10 offset1:11
	ds_store_2addr_b32 v30, v31, v29 offset0:12 offset1:13
	ds_store_2addr_b32 v30, v24, v28 offset0:14 offset1:15
	ds_store_b32 v30, v25 offset:64
.LBB0_17:
	s_wait_alu 0xfffe
	s_or_b32 exec_lo, exec_lo, s1
	v_add_nc_u32_e32 v28, 0x400, v43
	v_add_nc_u32_e32 v29, 0x800, v43
	global_wb scope:SCOPE_SE
	s_wait_dscnt 0x0
	s_barrier_signal -1
	s_barrier_wait -1
	global_inv scope:SCOPE_SE
	ds_load_2addr_b32 v[17:18], v43 offset1:153
	ds_load_2addr_b32 v[25:26], v28 offset0:50 offset1:203
	ds_load_2addr_b32 v[23:24], v29 offset0:100 offset1:253
	ds_load_b32 v27, v43 offset:3672
	s_and_saveexec_b32 s1, s0
	s_cbranch_execz .LBB0_19
; %bb.18:
	v_add_nc_u32_e32 v30, 0xd00, v43
	ds_load_b32 v90, v43 offset:476
	ds_load_2addr_b32 v[41:42], v28 offset0:16 offset1:169
	ds_load_2addr_b32 v[39:40], v29 offset0:66 offset1:219
	;; [unrolled: 1-line block ×3, first 2 shown]
	s_wait_dscnt 0x3
	v_lshrrev_b32_e32 v93, 16, v90
	s_wait_dscnt 0x2
	v_lshrrev_b32_e32 v100, 16, v41
	v_lshrrev_b32_e32 v99, 16, v42
	s_wait_dscnt 0x1
	v_lshrrev_b32_e32 v98, 16, v39
	;; [unrolled: 3-line block ×3, first 2 shown]
	v_lshrrev_b32_e32 v97, 16, v38
.LBB0_19:
	s_wait_alu 0xfffe
	s_or_b32 exec_lo, exec_lo, s1
	s_wait_dscnt 0x3
	v_lshrrev_b32_e32 v28, 16, v18
	s_wait_dscnt 0x2
	v_lshrrev_b32_e32 v30, 16, v25
	v_lshrrev_b32_e32 v31, 16, v26
	v_mul_f16_e32 v32, v64, v18
	s_wait_dscnt 0x1
	v_lshrrev_b32_e32 v34, 16, v23
	v_mul_f16_e32 v33, v64, v28
	v_lshrrev_b32_e32 v35, 16, v24
	s_wait_dscnt 0x0
	v_lshrrev_b32_e32 v36, 16, v27
	v_fma_f16 v28, v4, v28, -v32
	v_mul_f16_e32 v32, v62, v31
	v_fmac_f16_e32 v33, v4, v18
	v_mul_f16_e32 v4, v63, v30
	v_mul_f16_e32 v18, v63, v25
	;; [unrolled: 1-line block ×4, first 2 shown]
	v_fmac_f16_e32 v32, v6, v26
	v_fmac_f16_e32 v4, v5, v25
	v_fma_f16 v5, v5, v30, -v18
	v_mul_f16_e32 v18, v61, v36
	v_mul_f16_e32 v25, v61, v27
	;; [unrolled: 1-line block ×4, first 2 shown]
	v_fmac_f16_e32 v46, v7, v23
	v_mul_f16_e32 v23, v60, v23
	v_fmac_f16_e32 v18, v22, v27
	v_fma_f16 v22, v22, v36, -v25
	v_fmac_f16_e32 v26, v21, v24
	v_fma_f16 v21, v21, v35, -v30
	v_fma_f16 v6, v6, v31, -v45
	;; [unrolled: 1-line block ×3, first 2 shown]
	v_add_f16_e32 v23, v33, v18
	v_add_f16_e32 v24, v28, v22
	;; [unrolled: 1-line block ×4, first 2 shown]
	v_sub_f16_e32 v22, v28, v22
	v_sub_f16_e32 v4, v4, v26
	;; [unrolled: 1-line block ×3, first 2 shown]
	v_add_f16_e32 v21, v32, v46
	v_add_f16_e32 v26, v6, v7
	v_sub_f16_e32 v28, v46, v32
	v_sub_f16_e32 v6, v7, v6
	v_add_f16_e32 v7, v25, v23
	v_add_f16_e32 v30, v27, v24
	v_sub_f16_e32 v18, v33, v18
	v_lshrrev_b32_e32 v29, 16, v17
	v_sub_f16_e32 v31, v25, v23
	v_sub_f16_e32 v32, v27, v24
	;; [unrolled: 1-line block ×6, first 2 shown]
	v_add_f16_e32 v33, v28, v4
	v_add_f16_e32 v34, v6, v5
	v_sub_f16_e32 v35, v28, v4
	v_sub_f16_e32 v36, v6, v5
	v_add_f16_e32 v7, v21, v7
	v_add_f16_e32 v21, v26, v30
	v_sub_f16_e32 v4, v4, v18
	v_sub_f16_e32 v5, v5, v22
	;; [unrolled: 1-line block ×4, first 2 shown]
	v_add_f16_e32 v18, v33, v18
	v_add_f16_e32 v22, v34, v22
	;; [unrolled: 1-line block ×4, first 2 shown]
	v_mul_f16_e32 v23, 0x3a52, v23
	v_mul_f16_e32 v24, 0x3a52, v24
	;; [unrolled: 1-line block ×8, first 2 shown]
	v_fmamk_f16 v7, v7, 0xbcab, v17
	v_fmamk_f16 v21, v21, 0xbcab, v26
	;; [unrolled: 1-line block ×4, first 2 shown]
	v_fma_f16 v29, v31, 0x39e0, -v29
	v_fma_f16 v30, v32, 0x39e0, -v30
	;; [unrolled: 1-line block ×4, first 2 shown]
	v_fmamk_f16 v31, v28, 0xb574, v33
	v_fmamk_f16 v32, v6, 0xb574, v34
	v_fma_f16 v4, v4, 0xbb00, -v33
	v_fma_f16 v5, v5, 0xbb00, -v34
	;; [unrolled: 1-line block ×4, first 2 shown]
	v_add_f16_e32 v25, v25, v7
	v_add_f16_e32 v27, v27, v21
	v_fmac_f16_e32 v31, 0xb70e, v18
	v_fmac_f16_e32 v32, 0xb70e, v22
	v_add_f16_e32 v29, v29, v7
	v_add_f16_e32 v30, v30, v21
	;; [unrolled: 1-line block ×4, first 2 shown]
	v_fmac_f16_e32 v4, 0xb70e, v18
	v_fmac_f16_e32 v6, 0xb70e, v22
	v_fmac_f16_e32 v28, 0xb70e, v18
	v_fmac_f16_e32 v5, 0xb70e, v22
	v_add_f16_e32 v18, v32, v25
	v_sub_f16_e32 v22, v27, v31
	v_add_f16_e32 v23, v6, v7
	v_sub_f16_e32 v24, v21, v28
	v_sub_f16_e32 v33, v29, v5
	v_add_f16_e32 v34, v4, v30
	v_add_f16_e32 v5, v5, v29
	v_sub_f16_e32 v4, v30, v4
	v_sub_f16_e32 v6, v7, v6
	v_add_f16_e32 v7, v28, v21
	v_sub_f16_e32 v21, v25, v32
	v_add_f16_e32 v25, v31, v27
	v_pack_b32_f16 v17, v17, v26
	v_pack_b32_f16 v18, v18, v22
	;; [unrolled: 1-line block ×7, first 2 shown]
	global_wb scope:SCOPE_SE
	s_barrier_signal -1
	s_barrier_wait -1
	global_inv scope:SCOPE_SE
	ds_store_2addr_b32 v58, v17, v18 offset1:17
	ds_store_2addr_b32 v58, v22, v23 offset0:34 offset1:51
	ds_store_2addr_b32 v58, v4, v5 offset0:68 offset1:85
	ds_store_b32 v58, v6 offset:408
	s_and_saveexec_b32 s1, s0
	s_cbranch_execz .LBB0_21
; %bb.20:
	v_mul_f16_e32 v4, v56, v100
	v_mul_f16_e32 v7, v54, v99
	;; [unrolled: 1-line block ×10, first 2 shown]
	v_fmac_f16_e32 v7, v1, v42
	v_fmac_f16_e32 v17, v19, v37
	;; [unrolled: 1-line block ×4, first 2 shown]
	v_fma_f16 v20, v20, v97, -v23
	v_fma_f16 v0, v0, v100, -v26
	v_mul_f16_e32 v26, v52, v39
	v_mul_f16_e32 v29, v53, v40
	v_fma_f16 v19, v19, v96, -v27
	v_fma_f16 v1, v1, v99, -v28
	v_fmac_f16_e32 v5, v3, v40
	v_fmac_f16_e32 v6, v2, v39
	v_add_f16_e32 v27, v20, v0
	v_fma_f16 v2, v2, v98, -v26
	v_fma_f16 v3, v3, v95, -v29
	v_add_f16_e32 v26, v19, v1
	v_sub_f16_e32 v22, v7, v17
	v_sub_f16_e32 v24, v4, v18
	v_add_f16_e32 v4, v18, v4
	v_add_f16_e32 v29, v2, v3
	;; [unrolled: 1-line block ×4, first 2 shown]
	v_sub_f16_e32 v21, v5, v6
	v_add_f16_e32 v5, v6, v5
	v_sub_f16_e32 v31, v27, v29
	v_add_f16_e32 v30, v29, v30
	;; [unrolled: 2-line block ×3, first 2 shown]
	v_sub_f16_e32 v32, v4, v5
	v_sub_f16_e32 v2, v3, v2
	;; [unrolled: 1-line block ×4, first 2 shown]
	v_add_f16_e32 v29, v5, v29
	v_sub_f16_e32 v25, v21, v22
	v_sub_f16_e32 v23, v24, v21
	v_add_f16_e32 v21, v21, v22
	v_mul_f16_e32 v3, 0x3a52, v32
	v_sub_f16_e32 v5, v5, v7
	v_add_f16_e32 v19, v90, v29
	v_sub_f16_e32 v20, v2, v1
	v_sub_f16_e32 v22, v22, v24
	v_mul_f16_e32 v18, 0x3a52, v31
	v_sub_f16_e32 v33, v0, v2
	v_add_f16_e32 v2, v2, v1
	v_sub_f16_e32 v26, v26, v27
	v_sub_f16_e32 v1, v1, v0
	v_mul_f16_e32 v25, 0x3846, v25
	v_add_f16_e32 v6, v93, v30
	v_mul_f16_e32 v31, 0x2b26, v17
	v_fmamk_f16 v32, v5, 0x2b26, v3
	v_fmamk_f16 v29, v29, 0xbcab, v19
	v_mul_f16_e32 v20, 0x3846, v20
	v_mul_f16_e32 v35, 0xbb00, v22
	v_fmamk_f16 v17, v17, 0x2b26, v18
	v_mul_f16_e32 v5, 0x2b26, v5
	v_sub_f16_e32 v4, v7, v4
	v_fma_f16 v7, v26, 0xb9e0, -v18
	v_mul_f16_e32 v18, 0xbb00, v1
	v_fmamk_f16 v28, v23, 0xb574, v25
	v_add_f16_e32 v21, v21, v24
	v_fmamk_f16 v30, v30, 0xbcab, v6
	v_add_f16_e32 v24, v32, v29
	;; [unrolled: 2-line block ×3, first 2 shown]
	v_fma_f16 v2, v23, 0x3574, -v35
	v_fma_f16 v23, v26, 0x39e0, -v31
	v_fma_f16 v22, v22, 0xbb00, -v25
	v_fma_f16 v3, v4, 0xb9e0, -v3
	v_fma_f16 v18, v33, 0x3574, -v18
	v_fma_f16 v1, v1, 0xbb00, -v20
	v_fma_f16 v4, v4, 0x39e0, -v5
	v_fmac_f16_e32 v28, 0xb70e, v21
	v_add_f16_e32 v17, v17, v30
	v_fmac_f16_e32 v32, 0xb70e, v0
	v_fmac_f16_e32 v2, 0xb70e, v21
	v_add_f16_e32 v7, v7, v30
	v_add_f16_e32 v5, v23, v30
	v_fmac_f16_e32 v22, 0xb70e, v21
	v_add_f16_e32 v3, v3, v29
	v_fmac_f16_e32 v18, 0xb70e, v0
	v_fmac_f16_e32 v1, 0xb70e, v0
	v_add_f16_e32 v0, v4, v29
	v_add_f16_e32 v34, v28, v17
	;; [unrolled: 1-line block ×3, first 2 shown]
	v_sub_f16_e32 v23, v5, v22
	v_add_f16_e32 v5, v22, v5
	v_sub_f16_e32 v2, v7, v2
	v_mul_u32_u24_e32 v7, 0x77, v51
	v_sub_f16_e32 v17, v17, v28
	v_add_f16_e32 v22, v32, v24
	v_sub_f16_e32 v21, v3, v18
	v_add_f16_e32 v25, v1, v0
	v_add_f16_e32 v3, v18, v3
	v_sub_f16_e32 v0, v0, v1
	v_sub_f16_e32 v4, v24, v32
	v_add_lshl_u32 v1, v7, v50, 2
	v_pack_b32_f16 v6, v19, v6
	v_pack_b32_f16 v7, v22, v17
	;; [unrolled: 1-line block ×7, first 2 shown]
	ds_store_2addr_b32 v1, v6, v7 offset1:17
	ds_store_2addr_b32 v1, v2, v0 offset0:34 offset1:51
	ds_store_2addr_b32 v1, v3, v5 offset0:68 offset1:85
	ds_store_b32 v1, v4 offset:408
.LBB0_21:
	s_wait_alu 0xfffe
	s_or_b32 exec_lo, exec_lo, s1
	global_wb scope:SCOPE_SE
	s_wait_dscnt 0x0
	s_barrier_signal -1
	s_barrier_wait -1
	global_inv scope:SCOPE_SE
	ds_load_2addr_b32 v[3:4], v43 offset0:119 offset1:238
	v_add_nc_u32_e32 v2, 0x400, v43
	v_add_nc_u32_e32 v1, 0x800, v43
	;; [unrolled: 1-line block ×3, first 2 shown]
	ds_load_b32 v7, v43
	ds_load_2addr_b32 v[5:6], v2 offset0:101 offset1:220
	ds_load_2addr_b32 v[17:18], v1 offset0:83 offset1:202
	;; [unrolled: 1-line block ×3, first 2 shown]
	s_wait_dscnt 0x4
	v_lshrrev_b32_e32 v22, 16, v3
	v_lshrrev_b32_e32 v23, 16, v4
	v_mul_f16_e32 v24, v72, v3
	v_mul_f16_e32 v25, v71, v4
	s_wait_dscnt 0x2
	v_lshrrev_b32_e32 v26, 16, v5
	v_mul_f16_e32 v32, v72, v22
	v_lshrrev_b32_e32 v27, 16, v6
	s_wait_dscnt 0x1
	v_lshrrev_b32_e32 v28, 16, v17
	v_fma_f16 v22, v8, v22, -v24
	v_mul_f16_e32 v24, v71, v23
	v_fmac_f16_e32 v32, v8, v3
	v_mul_f16_e32 v3, v70, v26
	v_lshrrev_b32_e32 v29, 16, v18
	s_wait_dscnt 0x0
	v_lshrrev_b32_e32 v30, 16, v19
	v_lshrrev_b32_e32 v31, 16, v20
	v_fma_f16 v23, v9, v23, -v25
	v_mul_f16_e32 v25, v70, v5
	v_mul_f16_e32 v33, v69, v6
	v_fmac_f16_e32 v24, v9, v4
	v_mul_f16_e32 v8, v69, v27
	v_mul_f16_e32 v9, v68, v28
	v_fmac_f16_e32 v3, v10, v5
	v_mul_f16_e32 v5, v68, v17
	v_fma_f16 v4, v10, v26, -v25
	v_mul_f16_e32 v10, v65, v29
	v_fmac_f16_e32 v8, v11, v6
	v_fma_f16 v6, v11, v27, -v33
	v_fmac_f16_e32 v9, v12, v17
	v_fma_f16 v5, v12, v28, -v5
	v_mul_f16_e32 v11, v67, v31
	v_mul_f16_e32 v12, v67, v20
	;; [unrolled: 1-line block ×4, first 2 shown]
	v_fmac_f16_e32 v10, v13, v18
	v_mul_f16_e32 v18, v65, v18
	v_fmac_f16_e32 v11, v15, v20
	v_fma_f16 v12, v15, v31, -v12
	v_fmac_f16_e32 v17, v14, v19
	v_fma_f16 v14, v14, v30, -v25
	v_fma_f16 v13, v13, v29, -v18
	v_add_f16_e32 v15, v32, v11
	v_add_f16_e32 v18, v22, v12
	;; [unrolled: 1-line block ×4, first 2 shown]
	v_sub_f16_e32 v11, v32, v11
	v_add_f16_e32 v25, v3, v10
	v_sub_f16_e32 v17, v24, v17
	v_add_f16_e32 v24, v4, v13
	v_add_f16_e32 v34, v19, v15
	;; [unrolled: 1-line block ×3, first 2 shown]
	v_sub_f16_e32 v12, v22, v12
	v_mul_f16_e32 v22, 0x3924, v11
	v_sub_f16_e32 v27, v6, v5
	v_add_f16_e32 v38, v25, v34
	v_add_f16_e32 v39, v24, v35
	v_sub_f16_e32 v3, v3, v10
	v_fmac_f16_e32 v22, 0x3be1, v17
	v_sub_f16_e32 v26, v8, v9
	v_add_f16_e32 v28, v8, v9
	v_add_f16_e32 v29, v6, v5
	v_mul_f16_e32 v30, 0xb924, v27
	v_add_f16_e32 v8, v8, v38
	v_add_f16_e32 v6, v6, v39
	v_lshrrev_b32_e32 v21, 16, v7
	v_sub_f16_e32 v4, v4, v13
	v_fmac_f16_e32 v22, 0x3aee, v3
	v_fmac_f16_e32 v30, 0x3be1, v12
	v_add_f16_e32 v8, v9, v8
	v_add_f16_e32 v5, v5, v6
	v_fmamk_f16 v31, v28, 0x3a21, v7
	v_sub_f16_e32 v14, v23, v14
	v_mul_f16_e32 v23, 0x3924, v12
	v_fmamk_f16 v10, v15, 0x3a21, v7
	v_fmamk_f16 v13, v18, 0x3a21, v21
	v_fmac_f16_e32 v22, 0x3579, v26
	v_mul_f16_e32 v32, 0xb924, v26
	v_fmamk_f16 v33, v29, 0x3a21, v21
	v_fmac_f16_e32 v30, 0xbaee, v4
	v_add_f16_e32 v36, v26, v11
	v_add_f16_e32 v37, v27, v12
	;; [unrolled: 1-line block ×4, first 2 shown]
	v_mul_f16_e32 v9, 0x3be1, v26
	v_mul_f16_e32 v26, 0x3be1, v27
	v_add_f16_e32 v8, v8, v7
	v_add_f16_e32 v5, v5, v21
	v_fmac_f16_e32 v7, 0x3a21, v19
	v_fmac_f16_e32 v21, 0x3a21, v20
	;; [unrolled: 1-line block ×5, first 2 shown]
	v_sub_f16_e32 v37, v37, v14
	v_fma_f16 v9, v17, 0xb924, -v9
	v_fma_f16 v14, v14, 0xb924, -v26
	v_fmac_f16_e32 v7, 0x318f, v28
	v_fmac_f16_e32 v21, 0x318f, v29
	;; [unrolled: 1-line block ×4, first 2 shown]
	v_fmac_f16_e32 v31, -0.5, v25
	v_fmac_f16_e32 v10, 0x318f, v19
	v_fmac_f16_e32 v13, 0x318f, v20
	;; [unrolled: 1-line block ×4, first 2 shown]
	v_fmac_f16_e32 v7, -0.5, v25
	v_fmac_f16_e32 v21, -0.5, v24
	v_fmac_f16_e32 v32, 0xbaee, v3
	v_fmac_f16_e32 v33, -0.5, v24
	v_fmac_f16_e32 v31, 0xbb84, v19
	v_add_f16_e32 v6, v28, v34
	v_add_f16_e32 v19, v29, v35
	v_fmac_f16_e32 v23, 0x3aee, v4
	v_fmac_f16_e32 v10, -0.5, v25
	v_fmac_f16_e32 v13, -0.5, v24
	v_fmac_f16_e32 v9, 0x3579, v11
	v_fmac_f16_e32 v14, 0x3579, v12
	;; [unrolled: 1-line block ×6, first 2 shown]
	v_sub_f16_e32 v36, v36, v17
	v_fmac_f16_e32 v39, -0.5, v6
	v_fmac_f16_e32 v40, -0.5, v19
	v_fmac_f16_e32 v23, 0x3579, v27
	v_fmac_f16_e32 v10, 0xbb84, v28
	;; [unrolled: 1-line block ×3, first 2 shown]
	v_sub_f16_e32 v4, v7, v14
	v_add_f16_e32 v6, v9, v21
	v_sub_f16_e32 v31, v31, v30
	v_add_f16_e32 v33, v32, v33
	v_mul_f16_e32 v38, 0x3aee, v36
	v_mul_f16_e32 v3, 0x3aee, v37
	v_fmac_f16_e32 v39, 0xbaee, v37
	v_fmac_f16_e32 v40, 0x3aee, v36
	v_sub_f16_e32 v10, v10, v23
	v_add_f16_e32 v13, v22, v13
	v_fma_f16 v12, 2.0, v14, v4
	v_fma_f16 v9, -2.0, v9, v6
	v_fma_f16 v30, 2.0, v30, v31
	v_fma_f16 v7, -2.0, v32, v33
	;; [unrolled: 2-line block ×4, first 2 shown]
	v_pack_b32_f16 v5, v8, v5
	v_pack_b32_f16 v8, v10, v13
	v_pack_b32_f16 v10, v31, v33
	v_pack_b32_f16 v13, v39, v40
	v_add_nc_u32_e32 v14, 0x200, v43
	v_pack_b32_f16 v4, v4, v6
	v_pack_b32_f16 v6, v12, v9
	v_add_nc_u32_e32 v9, 0x600, v43
	v_pack_b32_f16 v3, v3, v11
	v_pack_b32_f16 v7, v30, v7
	v_add_nc_u32_e32 v11, 0xa00, v43
	v_pack_b32_f16 v12, v23, v22
	ds_store_b32 v43, v5
	ds_store_b32 v43, v8 offset:476
	ds_store_2addr_b32 v14, v10, v13 offset0:110 offset1:229
	ds_store_2addr_b32 v9, v4, v6 offset0:92 offset1:211
	;; [unrolled: 1-line block ×3, first 2 shown]
	ds_store_b32 v43, v12 offset:3808
	global_wb scope:SCOPE_SE
	s_wait_dscnt 0x0
	s_barrier_signal -1
	s_barrier_wait -1
	global_inv scope:SCOPE_SE
	s_and_b32 exec_lo, exec_lo, vcc_lo
	s_cbranch_execz .LBB0_23
; %bb.22:
	global_load_b32 v3, v43, s[12:13]
	ds_load_b32 v4, v43
	s_mov_b32 s8, 0x1e98801f
	s_mov_b32 s9, 0x3f4e9880
	v_mad_co_u64_u32 v[9:10], null, s4, v44, 0
	s_wait_dscnt 0x0
	v_lshrrev_b32_e32 v5, 16, v4
	s_wait_loadcnt 0x0
	v_lshrrev_b32_e32 v6, 16, v3
	s_delay_alu instid0(VALU_DEP_1) | instskip(SKIP_1) | instid1(VALU_DEP_2)
	v_mul_f16_e32 v7, v5, v6
	v_mul_f16_e32 v6, v4, v6
	v_fmac_f16_e32 v7, v4, v3
	s_delay_alu instid0(VALU_DEP_2) | instskip(NEXT) | instid1(VALU_DEP_2)
	v_fma_f16 v3, v3, v5, -v6
	v_cvt_f32_f16_e32 v4, v7
	s_delay_alu instid0(VALU_DEP_2) | instskip(SKIP_1) | instid1(VALU_DEP_3)
	v_cvt_f32_f16_e32 v5, v3
	v_mad_co_u64_u32 v[7:8], null, s6, v16, 0
	v_cvt_f64_f32_e32 v[3:4], v4
	s_delay_alu instid0(VALU_DEP_3) | instskip(SKIP_1) | instid1(VALU_DEP_2)
	v_cvt_f64_f32_e32 v[5:6], v5
	s_wait_alu 0xfffe
	v_mul_f64_e32 v[3:4], s[8:9], v[3:4]
	s_delay_alu instid0(VALU_DEP_2) | instskip(NEXT) | instid1(VALU_DEP_2)
	v_mul_f64_e32 v[5:6], s[8:9], v[5:6]
	v_and_or_b32 v3, 0x1ff, v4, v3
	s_delay_alu instid0(VALU_DEP_2)
	v_and_or_b32 v5, 0x1ff, v6, v5
	v_lshrrev_b32_e32 v11, 8, v4
	v_bfe_u32 v13, v4, 20, 11
	v_bfe_u32 v14, v6, 20, 11
	v_cmp_ne_u32_e32 vcc_lo, 0, v3
	v_lshrrev_b32_e32 v12, 8, v6
	v_mov_b32_e32 v3, v10
	v_sub_nc_u32_e32 v17, 0x3f1, v13
	v_sub_nc_u32_e32 v18, 0x3f1, v14
	v_cndmask_b32_e64 v15, 0, 1, vcc_lo
	v_cmp_ne_u32_e32 vcc_lo, 0, v5
	v_lshrrev_b32_e32 v6, 16, v6
	s_delay_alu instid0(VALU_DEP_3)
	v_and_or_b32 v15, 0xffe, v11, v15
	s_wait_alu 0xfffd
	v_cndmask_b32_e64 v5, 0, 1, vcc_lo
	v_mad_co_u64_u32 v[10:11], null, s7, v16, v[8:9]
	v_med3_i32 v16, v17, 0, 13
	v_med3_i32 v17, v18, 0, 13
	s_delay_alu instid0(VALU_DEP_4) | instskip(SKIP_2) | instid1(VALU_DEP_3)
	v_and_or_b32 v5, 0xffe, v12, v5
	v_or_b32_e32 v18, 0x1000, v15
	v_mov_b32_e32 v8, v10
	v_or_b32_e32 v19, 0x1000, v5
	v_mad_co_u64_u32 v[11:12], null, s5, v44, v[3:4]
	s_delay_alu instid0(VALU_DEP_4) | instskip(NEXT) | instid1(VALU_DEP_4)
	v_lshrrev_b32_e32 v3, v16, v18
	v_lshlrev_b64_e32 v[7:8], 2, v[7:8]
	s_delay_alu instid0(VALU_DEP_4) | instskip(SKIP_1) | instid1(VALU_DEP_3)
	v_lshrrev_b32_e32 v12, v17, v19
	s_mul_u64 s[4:5], s[4:5], 0xfc
	v_lshlrev_b32_e32 v16, v16, v3
	s_delay_alu instid0(VALU_DEP_2) | instskip(NEXT) | instid1(VALU_DEP_2)
	v_dual_mov_b32 v10, v11 :: v_dual_lshlrev_b32 v11, v17, v12
	v_cmp_ne_u32_e32 vcc_lo, v16, v18
	s_wait_alu 0xfffd
	v_cndmask_b32_e64 v16, 0, 1, vcc_lo
	s_delay_alu instid0(VALU_DEP_3) | instskip(NEXT) | instid1(VALU_DEP_2)
	v_cmp_ne_u32_e32 vcc_lo, v11, v19
	v_or_b32_e32 v3, v3, v16
	v_add_nc_u32_e32 v14, 0xfffffc10, v14
	s_wait_alu 0xfffd
	v_cndmask_b32_e64 v11, 0, 1, vcc_lo
	s_delay_alu instid0(VALU_DEP_2) | instskip(NEXT) | instid1(VALU_DEP_2)
	v_lshl_or_b32 v16, v14, 12, v5
	v_or_b32_e32 v11, v12, v11
	v_add_nc_u32_e32 v13, 0xfffffc10, v13
	v_lshrrev_b32_e32 v12, 16, v4
	s_delay_alu instid0(VALU_DEP_2) | instskip(SKIP_2) | instid1(VALU_DEP_2)
	v_lshl_or_b32 v17, v13, 12, v15
	v_cmp_gt_i32_e32 vcc_lo, 1, v13
	s_wait_alu 0xfffd
	v_cndmask_b32_e32 v3, v17, v3, vcc_lo
	v_cmp_gt_i32_e32 vcc_lo, 1, v14
	s_wait_alu 0xfffd
	v_cndmask_b32_e32 v4, v16, v11, vcc_lo
	v_cmp_ne_u32_e32 vcc_lo, 0, v15
	v_and_b32_e32 v15, 7, v3
	v_lshrrev_b32_e32 v3, 2, v3
	s_wait_alu 0xfffd
	v_cndmask_b32_e64 v11, 0, 1, vcc_lo
	v_cmp_ne_u32_e32 vcc_lo, 0, v5
	v_cmp_eq_u32_e64 s0, 3, v15
	s_delay_alu instid0(VALU_DEP_3) | instskip(SKIP_3) | instid1(VALU_DEP_2)
	v_lshl_or_b32 v11, v11, 9, 0x7c00
	s_wait_alu 0xfffd
	v_cndmask_b32_e64 v5, 0, 1, vcc_lo
	v_cmp_lt_i32_e32 vcc_lo, 5, v15
	v_lshl_or_b32 v5, v5, 9, 0x7c00
	s_or_b32 vcc_lo, s0, vcc_lo
	s_wait_alu 0xfffe
	v_add_co_ci_u32_e32 v3, vcc_lo, 0, v3, vcc_lo
	v_and_b32_e32 v16, 7, v4
	v_lshrrev_b32_e32 v4, 2, v4
	s_delay_alu instid0(VALU_DEP_2) | instskip(SKIP_1) | instid1(VALU_DEP_1)
	v_cmp_lt_i32_e64 s1, 5, v16
	v_cmp_eq_u32_e64 s2, 3, v16
	s_or_b32 vcc_lo, s2, s1
	s_wait_alu 0xfffe
	v_add_co_ci_u32_e32 v4, vcc_lo, 0, v4, vcc_lo
	v_cmp_gt_i32_e32 vcc_lo, 31, v13
	s_wait_alu 0xfffd
	v_cndmask_b32_e32 v3, 0x7c00, v3, vcc_lo
	v_cmp_gt_i32_e32 vcc_lo, 31, v14
	s_wait_alu 0xfffd
	v_cndmask_b32_e32 v15, 0x7c00, v4, vcc_lo
	v_cmp_eq_u32_e32 vcc_lo, 0x40f, v13
	s_wait_alu 0xfffd
	v_cndmask_b32_e32 v11, v3, v11, vcc_lo
	v_cmp_eq_u32_e32 vcc_lo, 0x40f, v14
	v_lshlrev_b64_e32 v[3:4], 2, v[9:10]
	s_delay_alu instid0(VALU_DEP_3)
	v_and_or_b32 v9, 0x8000, v12, v11
	s_wait_alu 0xfffd
	v_cndmask_b32_e32 v5, v15, v5, vcc_lo
	v_add_co_u32 v7, vcc_lo, s14, v7
	s_wait_alu 0xfffd
	v_add_co_ci_u32_e32 v8, vcc_lo, s15, v8, vcc_lo
	s_delay_alu instid0(VALU_DEP_3) | instskip(SKIP_4) | instid1(VALU_DEP_3)
	v_and_or_b32 v5, 0x8000, v6, v5
	v_and_b32_e32 v6, 0xffff, v9
	v_add_co_u32 v3, vcc_lo, v7, v3
	s_wait_alu 0xfffd
	v_add_co_ci_u32_e32 v4, vcc_lo, v8, v4, vcc_lo
	v_lshl_or_b32 v5, v5, 16, v6
	global_store_b32 v[3:4], v5, off
	global_load_b32 v7, v43, s[12:13] offset:252
	ds_load_2addr_b32 v[5:6], v43 offset0:63 offset1:126
	s_wait_dscnt 0x0
	v_lshrrev_b32_e32 v8, 16, v5
	s_wait_loadcnt 0x0
	v_lshrrev_b32_e32 v9, 16, v7
	s_delay_alu instid0(VALU_DEP_1) | instskip(SKIP_1) | instid1(VALU_DEP_2)
	v_mul_f16_e32 v10, v8, v9
	v_mul_f16_e32 v9, v5, v9
	v_fmac_f16_e32 v10, v5, v7
	s_delay_alu instid0(VALU_DEP_2) | instskip(NEXT) | instid1(VALU_DEP_2)
	v_fma_f16 v5, v7, v8, -v9
	v_cvt_f32_f16_e32 v7, v10
	s_delay_alu instid0(VALU_DEP_2) | instskip(NEXT) | instid1(VALU_DEP_2)
	v_cvt_f32_f16_e32 v5, v5
	v_cvt_f64_f32_e32 v[7:8], v7
	s_delay_alu instid0(VALU_DEP_2) | instskip(NEXT) | instid1(VALU_DEP_2)
	v_cvt_f64_f32_e32 v[9:10], v5
	v_mul_f64_e32 v[7:8], s[8:9], v[7:8]
	s_delay_alu instid0(VALU_DEP_2) | instskip(NEXT) | instid1(VALU_DEP_2)
	v_mul_f64_e32 v[9:10], s[8:9], v[9:10]
	v_and_or_b32 v5, 0x1ff, v8, v7
	s_delay_alu instid0(VALU_DEP_2)
	v_and_or_b32 v9, 0x1ff, v10, v9
	v_lshrrev_b32_e32 v7, 8, v8
	v_bfe_u32 v11, v8, 20, 11
	v_lshrrev_b32_e32 v12, 8, v10
	v_cmp_ne_u32_e32 vcc_lo, 0, v5
	v_bfe_u32 v13, v10, 20, 11
	v_lshrrev_b32_e32 v8, 16, v8
	v_sub_nc_u32_e32 v14, 0x3f1, v11
	v_add_nc_u32_e32 v11, 0xfffffc10, v11
	s_wait_alu 0xfffd
	v_cndmask_b32_e64 v5, 0, 1, vcc_lo
	v_cmp_ne_u32_e32 vcc_lo, 0, v9
	v_lshrrev_b32_e32 v10, 16, v10
	s_delay_alu instid0(VALU_DEP_3) | instskip(SKIP_4) | instid1(VALU_DEP_3)
	v_and_or_b32 v5, 0xffe, v7, v5
	s_wait_alu 0xfffd
	v_cndmask_b32_e64 v9, 0, 1, vcc_lo
	v_sub_nc_u32_e32 v7, 0x3f1, v13
	v_add_nc_u32_e32 v13, 0xfffffc10, v13
	v_and_or_b32 v9, 0xffe, v12, v9
	v_med3_i32 v12, v14, 0, 13
	v_or_b32_e32 v14, 0x1000, v5
	v_med3_i32 v7, v7, 0, 13
	s_delay_alu instid0(VALU_DEP_4) | instskip(NEXT) | instid1(VALU_DEP_3)
	v_or_b32_e32 v15, 0x1000, v9
	v_lshrrev_b32_e32 v16, v12, v14
	s_delay_alu instid0(VALU_DEP_2) | instskip(NEXT) | instid1(VALU_DEP_2)
	v_lshrrev_b32_e32 v17, v7, v15
	v_lshlrev_b32_e32 v12, v12, v16
	s_delay_alu instid0(VALU_DEP_2) | instskip(NEXT) | instid1(VALU_DEP_2)
	v_lshlrev_b32_e32 v7, v7, v17
	v_cmp_ne_u32_e32 vcc_lo, v12, v14
	v_lshl_or_b32 v14, v11, 12, v5
	s_wait_alu 0xfffd
	v_cndmask_b32_e64 v12, 0, 1, vcc_lo
	v_cmp_ne_u32_e32 vcc_lo, v7, v15
	v_lshl_or_b32 v15, v13, 12, v9
	s_delay_alu instid0(VALU_DEP_3) | instskip(SKIP_3) | instid1(VALU_DEP_2)
	v_or_b32_e32 v12, v16, v12
	s_wait_alu 0xfffd
	v_cndmask_b32_e64 v7, 0, 1, vcc_lo
	v_cmp_gt_i32_e32 vcc_lo, 1, v11
	v_or_b32_e32 v7, v17, v7
	s_wait_alu 0xfffd
	v_cndmask_b32_e32 v12, v14, v12, vcc_lo
	v_cmp_gt_i32_e32 vcc_lo, 1, v13
	s_wait_alu 0xfffd
	s_delay_alu instid0(VALU_DEP_2) | instskip(SKIP_2) | instid1(VALU_DEP_3)
	v_dual_cndmask_b32 v7, v15, v7 :: v_dual_and_b32 v14, 7, v12
	v_cmp_ne_u32_e32 vcc_lo, 0, v5
	v_lshrrev_b32_e32 v12, 2, v12
	v_cmp_eq_u32_e64 s0, 3, v14
	s_delay_alu instid0(VALU_DEP_4)
	v_and_b32_e32 v15, 7, v7
	s_wait_alu 0xfffd
	v_cndmask_b32_e64 v5, 0, 1, vcc_lo
	v_cmp_ne_u32_e32 vcc_lo, 0, v9
	v_lshrrev_b32_e32 v7, 2, v7
	v_cmp_lt_i32_e64 s1, 5, v15
	v_cmp_eq_u32_e64 s2, 3, v15
	s_wait_alu 0xfffd
	v_cndmask_b32_e64 v9, 0, 1, vcc_lo
	v_cmp_lt_i32_e32 vcc_lo, 5, v14
	v_lshl_or_b32 v5, v5, 9, 0x7c00
	s_delay_alu instid0(VALU_DEP_3)
	v_lshl_or_b32 v9, v9, 9, 0x7c00
	s_or_b32 vcc_lo, s0, vcc_lo
	s_wait_alu 0xfffe
	v_add_co_ci_u32_e32 v12, vcc_lo, 0, v12, vcc_lo
	s_or_b32 vcc_lo, s2, s1
	s_wait_alu 0xfffe
	v_add_co_ci_u32_e32 v7, vcc_lo, 0, v7, vcc_lo
	v_cmp_gt_i32_e32 vcc_lo, 31, v11
	s_wait_alu 0xfffd
	v_cndmask_b32_e32 v12, 0x7c00, v12, vcc_lo
	v_cmp_gt_i32_e32 vcc_lo, 31, v13
	s_wait_alu 0xfffd
	v_cndmask_b32_e32 v7, 0x7c00, v7, vcc_lo
	v_cmp_eq_u32_e32 vcc_lo, 0x40f, v11
	s_wait_alu 0xfffd
	v_cndmask_b32_e32 v5, v12, v5, vcc_lo
	v_cmp_eq_u32_e32 vcc_lo, 0x40f, v13
	s_delay_alu instid0(VALU_DEP_2)
	v_and_or_b32 v5, 0x8000, v8, v5
	s_wait_alu 0xfffd
	v_cndmask_b32_e32 v7, v7, v9, vcc_lo
	v_add_co_u32 v3, vcc_lo, v3, s4
	s_wait_alu 0xfffd
	v_add_co_ci_u32_e32 v4, vcc_lo, s5, v4, vcc_lo
	s_delay_alu instid0(VALU_DEP_3) | instskip(SKIP_1) | instid1(VALU_DEP_1)
	v_and_or_b32 v7, 0x8000, v10, v7
	v_and_b32_e32 v5, 0xffff, v5
	v_lshl_or_b32 v5, v7, 16, v5
	v_lshrrev_b32_e32 v7, 16, v6
	global_store_b32 v[3:4], v5, off
	global_load_b32 v5, v43, s[12:13] offset:504
	s_wait_loadcnt 0x0
	v_lshrrev_b32_e32 v8, 16, v5
	s_delay_alu instid0(VALU_DEP_1) | instskip(SKIP_1) | instid1(VALU_DEP_2)
	v_mul_f16_e32 v9, v7, v8
	v_mul_f16_e32 v8, v6, v8
	v_fmac_f16_e32 v9, v6, v5
	s_delay_alu instid0(VALU_DEP_2) | instskip(NEXT) | instid1(VALU_DEP_2)
	v_fma_f16 v5, v5, v7, -v8
	v_cvt_f32_f16_e32 v6, v9
	s_delay_alu instid0(VALU_DEP_2) | instskip(NEXT) | instid1(VALU_DEP_2)
	v_cvt_f32_f16_e32 v7, v5
	v_cvt_f64_f32_e32 v[5:6], v6
	s_delay_alu instid0(VALU_DEP_2) | instskip(NEXT) | instid1(VALU_DEP_2)
	v_cvt_f64_f32_e32 v[7:8], v7
	v_mul_f64_e32 v[5:6], s[8:9], v[5:6]
	s_delay_alu instid0(VALU_DEP_2) | instskip(NEXT) | instid1(VALU_DEP_2)
	v_mul_f64_e32 v[7:8], s[8:9], v[7:8]
	v_and_or_b32 v5, 0x1ff, v6, v5
	s_delay_alu instid0(VALU_DEP_2)
	v_and_or_b32 v7, 0x1ff, v8, v7
	v_lshrrev_b32_e32 v9, 8, v6
	v_bfe_u32 v10, v6, 20, 11
	v_lshrrev_b32_e32 v11, 8, v8
	v_cmp_ne_u32_e32 vcc_lo, 0, v5
	v_bfe_u32 v12, v8, 20, 11
	v_lshrrev_b32_e32 v6, 16, v6
	v_sub_nc_u32_e32 v13, 0x3f1, v10
	v_add_nc_u32_e32 v10, 0xfffffc10, v10
	s_wait_alu 0xfffd
	v_cndmask_b32_e64 v5, 0, 1, vcc_lo
	v_cmp_ne_u32_e32 vcc_lo, 0, v7
	v_lshrrev_b32_e32 v8, 16, v8
	s_delay_alu instid0(VALU_DEP_3) | instskip(SKIP_4) | instid1(VALU_DEP_3)
	v_and_or_b32 v5, 0xffe, v9, v5
	s_wait_alu 0xfffd
	v_cndmask_b32_e64 v7, 0, 1, vcc_lo
	v_sub_nc_u32_e32 v9, 0x3f1, v12
	v_add_nc_u32_e32 v12, 0xfffffc10, v12
	v_and_or_b32 v7, 0xffe, v11, v7
	v_med3_i32 v11, v13, 0, 13
	v_or_b32_e32 v13, 0x1000, v5
	v_med3_i32 v9, v9, 0, 13
	s_delay_alu instid0(VALU_DEP_4) | instskip(NEXT) | instid1(VALU_DEP_3)
	v_or_b32_e32 v14, 0x1000, v7
	v_lshrrev_b32_e32 v15, v11, v13
	s_delay_alu instid0(VALU_DEP_2) | instskip(NEXT) | instid1(VALU_DEP_2)
	v_lshrrev_b32_e32 v16, v9, v14
	v_lshlrev_b32_e32 v11, v11, v15
	s_delay_alu instid0(VALU_DEP_2) | instskip(NEXT) | instid1(VALU_DEP_2)
	v_lshlrev_b32_e32 v9, v9, v16
	v_cmp_ne_u32_e32 vcc_lo, v11, v13
	v_lshl_or_b32 v13, v10, 12, v5
	s_wait_alu 0xfffd
	v_cndmask_b32_e64 v11, 0, 1, vcc_lo
	v_cmp_ne_u32_e32 vcc_lo, v9, v14
	v_lshl_or_b32 v14, v12, 12, v7
	s_delay_alu instid0(VALU_DEP_3) | instskip(SKIP_3) | instid1(VALU_DEP_2)
	v_or_b32_e32 v11, v15, v11
	s_wait_alu 0xfffd
	v_cndmask_b32_e64 v9, 0, 1, vcc_lo
	v_cmp_gt_i32_e32 vcc_lo, 1, v10
	v_or_b32_e32 v9, v16, v9
	s_wait_alu 0xfffd
	v_cndmask_b32_e32 v11, v13, v11, vcc_lo
	v_cmp_gt_i32_e32 vcc_lo, 1, v12
	s_delay_alu instid0(VALU_DEP_2)
	v_and_b32_e32 v13, 7, v11
	s_wait_alu 0xfffd
	v_cndmask_b32_e32 v9, v14, v9, vcc_lo
	v_cmp_ne_u32_e32 vcc_lo, 0, v5
	v_lshrrev_b32_e32 v11, 2, v11
	v_cmp_eq_u32_e64 s0, 3, v13
	s_delay_alu instid0(VALU_DEP_4)
	v_and_b32_e32 v14, 7, v9
	s_wait_alu 0xfffd
	v_cndmask_b32_e64 v5, 0, 1, vcc_lo
	v_cmp_ne_u32_e32 vcc_lo, 0, v7
	v_lshrrev_b32_e32 v9, 2, v9
	v_cmp_lt_i32_e64 s1, 5, v14
	v_cmp_eq_u32_e64 s2, 3, v14
	s_wait_alu 0xfffd
	v_cndmask_b32_e64 v7, 0, 1, vcc_lo
	v_cmp_lt_i32_e32 vcc_lo, 5, v13
	v_lshl_or_b32 v5, v5, 9, 0x7c00
	s_delay_alu instid0(VALU_DEP_3)
	v_lshl_or_b32 v7, v7, 9, 0x7c00
	s_or_b32 vcc_lo, s0, vcc_lo
	s_wait_alu 0xfffe
	v_add_co_ci_u32_e32 v11, vcc_lo, 0, v11, vcc_lo
	s_or_b32 vcc_lo, s2, s1
	s_wait_alu 0xfffe
	v_add_co_ci_u32_e32 v9, vcc_lo, 0, v9, vcc_lo
	v_cmp_gt_i32_e32 vcc_lo, 31, v10
	s_wait_alu 0xfffd
	v_cndmask_b32_e32 v11, 0x7c00, v11, vcc_lo
	v_cmp_gt_i32_e32 vcc_lo, 31, v12
	s_wait_alu 0xfffd
	v_cndmask_b32_e32 v9, 0x7c00, v9, vcc_lo
	v_cmp_eq_u32_e32 vcc_lo, 0x40f, v10
	s_wait_alu 0xfffd
	v_cndmask_b32_e32 v5, v11, v5, vcc_lo
	v_cmp_eq_u32_e32 vcc_lo, 0x40f, v12
	s_delay_alu instid0(VALU_DEP_2)
	v_and_or_b32 v5, 0x8000, v6, v5
	s_wait_alu 0xfffd
	v_cndmask_b32_e32 v7, v9, v7, vcc_lo
	v_add_co_u32 v3, vcc_lo, v3, s4
	s_wait_alu 0xfffd
	v_add_co_ci_u32_e32 v4, vcc_lo, s5, v4, vcc_lo
	s_delay_alu instid0(VALU_DEP_3) | instskip(SKIP_1) | instid1(VALU_DEP_1)
	v_and_or_b32 v6, 0x8000, v8, v7
	v_and_b32_e32 v5, 0xffff, v5
	v_lshl_or_b32 v5, v6, 16, v5
	global_store_b32 v[3:4], v5, off
	global_load_b32 v7, v43, s[12:13] offset:756
	ds_load_2addr_b32 v[5:6], v43 offset0:189 offset1:252
	s_wait_dscnt 0x0
	v_lshrrev_b32_e32 v8, 16, v5
	s_wait_loadcnt 0x0
	v_lshrrev_b32_e32 v9, 16, v7
	s_delay_alu instid0(VALU_DEP_1) | instskip(SKIP_1) | instid1(VALU_DEP_2)
	v_mul_f16_e32 v10, v8, v9
	v_mul_f16_e32 v9, v5, v9
	v_fmac_f16_e32 v10, v5, v7
	s_delay_alu instid0(VALU_DEP_2) | instskip(NEXT) | instid1(VALU_DEP_2)
	v_fma_f16 v5, v7, v8, -v9
	v_cvt_f32_f16_e32 v7, v10
	s_delay_alu instid0(VALU_DEP_2) | instskip(NEXT) | instid1(VALU_DEP_2)
	v_cvt_f32_f16_e32 v5, v5
	v_cvt_f64_f32_e32 v[7:8], v7
	s_delay_alu instid0(VALU_DEP_2) | instskip(NEXT) | instid1(VALU_DEP_2)
	v_cvt_f64_f32_e32 v[9:10], v5
	v_mul_f64_e32 v[7:8], s[8:9], v[7:8]
	s_delay_alu instid0(VALU_DEP_2) | instskip(NEXT) | instid1(VALU_DEP_2)
	v_mul_f64_e32 v[9:10], s[8:9], v[9:10]
	v_and_or_b32 v5, 0x1ff, v8, v7
	s_delay_alu instid0(VALU_DEP_2)
	v_and_or_b32 v9, 0x1ff, v10, v9
	v_lshrrev_b32_e32 v7, 8, v8
	v_bfe_u32 v11, v8, 20, 11
	v_lshrrev_b32_e32 v12, 8, v10
	v_cmp_ne_u32_e32 vcc_lo, 0, v5
	v_bfe_u32 v13, v10, 20, 11
	v_lshrrev_b32_e32 v8, 16, v8
	v_sub_nc_u32_e32 v14, 0x3f1, v11
	v_add_nc_u32_e32 v11, 0xfffffc10, v11
	s_wait_alu 0xfffd
	v_cndmask_b32_e64 v5, 0, 1, vcc_lo
	v_cmp_ne_u32_e32 vcc_lo, 0, v9
	v_lshrrev_b32_e32 v10, 16, v10
	s_delay_alu instid0(VALU_DEP_3) | instskip(SKIP_4) | instid1(VALU_DEP_3)
	v_and_or_b32 v5, 0xffe, v7, v5
	s_wait_alu 0xfffd
	v_cndmask_b32_e64 v9, 0, 1, vcc_lo
	v_sub_nc_u32_e32 v7, 0x3f1, v13
	v_add_nc_u32_e32 v13, 0xfffffc10, v13
	v_and_or_b32 v9, 0xffe, v12, v9
	v_med3_i32 v12, v14, 0, 13
	v_or_b32_e32 v14, 0x1000, v5
	v_med3_i32 v7, v7, 0, 13
	s_delay_alu instid0(VALU_DEP_4) | instskip(NEXT) | instid1(VALU_DEP_3)
	v_or_b32_e32 v15, 0x1000, v9
	v_lshrrev_b32_e32 v16, v12, v14
	s_delay_alu instid0(VALU_DEP_2) | instskip(NEXT) | instid1(VALU_DEP_2)
	v_lshrrev_b32_e32 v17, v7, v15
	v_lshlrev_b32_e32 v12, v12, v16
	s_delay_alu instid0(VALU_DEP_2) | instskip(NEXT) | instid1(VALU_DEP_2)
	v_lshlrev_b32_e32 v7, v7, v17
	v_cmp_ne_u32_e32 vcc_lo, v12, v14
	v_lshl_or_b32 v14, v11, 12, v5
	s_wait_alu 0xfffd
	v_cndmask_b32_e64 v12, 0, 1, vcc_lo
	v_cmp_ne_u32_e32 vcc_lo, v7, v15
	v_lshl_or_b32 v15, v13, 12, v9
	s_delay_alu instid0(VALU_DEP_3) | instskip(SKIP_3) | instid1(VALU_DEP_2)
	v_or_b32_e32 v12, v16, v12
	s_wait_alu 0xfffd
	v_cndmask_b32_e64 v7, 0, 1, vcc_lo
	v_cmp_gt_i32_e32 vcc_lo, 1, v11
	v_or_b32_e32 v7, v17, v7
	s_wait_alu 0xfffd
	v_cndmask_b32_e32 v12, v14, v12, vcc_lo
	v_cmp_gt_i32_e32 vcc_lo, 1, v13
	s_wait_alu 0xfffd
	s_delay_alu instid0(VALU_DEP_2) | instskip(SKIP_2) | instid1(VALU_DEP_3)
	v_dual_cndmask_b32 v7, v15, v7 :: v_dual_and_b32 v14, 7, v12
	v_cmp_ne_u32_e32 vcc_lo, 0, v5
	v_lshrrev_b32_e32 v12, 2, v12
	v_cmp_eq_u32_e64 s0, 3, v14
	s_delay_alu instid0(VALU_DEP_4)
	v_and_b32_e32 v15, 7, v7
	s_wait_alu 0xfffd
	v_cndmask_b32_e64 v5, 0, 1, vcc_lo
	v_cmp_ne_u32_e32 vcc_lo, 0, v9
	v_lshrrev_b32_e32 v7, 2, v7
	v_cmp_lt_i32_e64 s1, 5, v15
	v_cmp_eq_u32_e64 s2, 3, v15
	s_wait_alu 0xfffd
	v_cndmask_b32_e64 v9, 0, 1, vcc_lo
	v_cmp_lt_i32_e32 vcc_lo, 5, v14
	v_lshl_or_b32 v5, v5, 9, 0x7c00
	s_delay_alu instid0(VALU_DEP_3)
	v_lshl_or_b32 v9, v9, 9, 0x7c00
	s_or_b32 vcc_lo, s0, vcc_lo
	s_wait_alu 0xfffe
	v_add_co_ci_u32_e32 v12, vcc_lo, 0, v12, vcc_lo
	s_or_b32 vcc_lo, s2, s1
	s_wait_alu 0xfffe
	v_add_co_ci_u32_e32 v7, vcc_lo, 0, v7, vcc_lo
	v_cmp_gt_i32_e32 vcc_lo, 31, v11
	s_wait_alu 0xfffd
	v_cndmask_b32_e32 v12, 0x7c00, v12, vcc_lo
	v_cmp_gt_i32_e32 vcc_lo, 31, v13
	s_wait_alu 0xfffd
	v_cndmask_b32_e32 v7, 0x7c00, v7, vcc_lo
	v_cmp_eq_u32_e32 vcc_lo, 0x40f, v11
	s_wait_alu 0xfffd
	v_cndmask_b32_e32 v5, v12, v5, vcc_lo
	v_cmp_eq_u32_e32 vcc_lo, 0x40f, v13
	s_delay_alu instid0(VALU_DEP_2)
	v_and_or_b32 v5, 0x8000, v8, v5
	s_wait_alu 0xfffd
	v_cndmask_b32_e32 v7, v7, v9, vcc_lo
	v_add_co_u32 v3, vcc_lo, v3, s4
	s_wait_alu 0xfffd
	v_add_co_ci_u32_e32 v4, vcc_lo, s5, v4, vcc_lo
	s_delay_alu instid0(VALU_DEP_3) | instskip(SKIP_1) | instid1(VALU_DEP_1)
	v_and_or_b32 v7, 0x8000, v10, v7
	v_and_b32_e32 v5, 0xffff, v5
	v_lshl_or_b32 v5, v7, 16, v5
	v_lshrrev_b32_e32 v7, 16, v6
	global_store_b32 v[3:4], v5, off
	global_load_b32 v5, v43, s[12:13] offset:1008
	s_wait_loadcnt 0x0
	v_lshrrev_b32_e32 v8, 16, v5
	s_delay_alu instid0(VALU_DEP_1) | instskip(SKIP_1) | instid1(VALU_DEP_2)
	v_mul_f16_e32 v9, v7, v8
	v_mul_f16_e32 v8, v6, v8
	v_fmac_f16_e32 v9, v6, v5
	s_delay_alu instid0(VALU_DEP_2) | instskip(NEXT) | instid1(VALU_DEP_2)
	v_fma_f16 v5, v5, v7, -v8
	v_cvt_f32_f16_e32 v6, v9
	s_delay_alu instid0(VALU_DEP_2) | instskip(NEXT) | instid1(VALU_DEP_2)
	v_cvt_f32_f16_e32 v7, v5
	v_cvt_f64_f32_e32 v[5:6], v6
	s_delay_alu instid0(VALU_DEP_2) | instskip(NEXT) | instid1(VALU_DEP_2)
	v_cvt_f64_f32_e32 v[7:8], v7
	v_mul_f64_e32 v[5:6], s[8:9], v[5:6]
	s_delay_alu instid0(VALU_DEP_2) | instskip(NEXT) | instid1(VALU_DEP_2)
	v_mul_f64_e32 v[7:8], s[8:9], v[7:8]
	v_and_or_b32 v5, 0x1ff, v6, v5
	s_delay_alu instid0(VALU_DEP_2)
	v_and_or_b32 v7, 0x1ff, v8, v7
	v_lshrrev_b32_e32 v9, 8, v6
	v_bfe_u32 v10, v6, 20, 11
	v_lshrrev_b32_e32 v11, 8, v8
	v_cmp_ne_u32_e32 vcc_lo, 0, v5
	v_bfe_u32 v12, v8, 20, 11
	v_lshrrev_b32_e32 v6, 16, v6
	v_sub_nc_u32_e32 v13, 0x3f1, v10
	v_add_nc_u32_e32 v10, 0xfffffc10, v10
	s_wait_alu 0xfffd
	v_cndmask_b32_e64 v5, 0, 1, vcc_lo
	v_cmp_ne_u32_e32 vcc_lo, 0, v7
	v_lshrrev_b32_e32 v8, 16, v8
	s_delay_alu instid0(VALU_DEP_3) | instskip(SKIP_4) | instid1(VALU_DEP_3)
	v_and_or_b32 v5, 0xffe, v9, v5
	s_wait_alu 0xfffd
	v_cndmask_b32_e64 v7, 0, 1, vcc_lo
	v_sub_nc_u32_e32 v9, 0x3f1, v12
	v_add_nc_u32_e32 v12, 0xfffffc10, v12
	v_and_or_b32 v7, 0xffe, v11, v7
	v_med3_i32 v11, v13, 0, 13
	v_or_b32_e32 v13, 0x1000, v5
	v_med3_i32 v9, v9, 0, 13
	s_delay_alu instid0(VALU_DEP_4) | instskip(NEXT) | instid1(VALU_DEP_3)
	v_or_b32_e32 v14, 0x1000, v7
	v_lshrrev_b32_e32 v15, v11, v13
	s_delay_alu instid0(VALU_DEP_2) | instskip(NEXT) | instid1(VALU_DEP_2)
	v_lshrrev_b32_e32 v16, v9, v14
	v_lshlrev_b32_e32 v11, v11, v15
	s_delay_alu instid0(VALU_DEP_2) | instskip(NEXT) | instid1(VALU_DEP_2)
	v_lshlrev_b32_e32 v9, v9, v16
	v_cmp_ne_u32_e32 vcc_lo, v11, v13
	v_lshl_or_b32 v13, v10, 12, v5
	s_wait_alu 0xfffd
	v_cndmask_b32_e64 v11, 0, 1, vcc_lo
	v_cmp_ne_u32_e32 vcc_lo, v9, v14
	v_lshl_or_b32 v14, v12, 12, v7
	s_delay_alu instid0(VALU_DEP_3) | instskip(SKIP_3) | instid1(VALU_DEP_2)
	v_or_b32_e32 v11, v15, v11
	s_wait_alu 0xfffd
	v_cndmask_b32_e64 v9, 0, 1, vcc_lo
	v_cmp_gt_i32_e32 vcc_lo, 1, v10
	v_or_b32_e32 v9, v16, v9
	s_wait_alu 0xfffd
	v_cndmask_b32_e32 v11, v13, v11, vcc_lo
	v_cmp_gt_i32_e32 vcc_lo, 1, v12
	s_delay_alu instid0(VALU_DEP_2)
	v_and_b32_e32 v13, 7, v11
	s_wait_alu 0xfffd
	v_cndmask_b32_e32 v9, v14, v9, vcc_lo
	v_cmp_ne_u32_e32 vcc_lo, 0, v5
	v_lshrrev_b32_e32 v11, 2, v11
	v_cmp_eq_u32_e64 s0, 3, v13
	s_delay_alu instid0(VALU_DEP_4)
	v_and_b32_e32 v14, 7, v9
	s_wait_alu 0xfffd
	v_cndmask_b32_e64 v5, 0, 1, vcc_lo
	v_cmp_ne_u32_e32 vcc_lo, 0, v7
	v_lshrrev_b32_e32 v9, 2, v9
	v_cmp_lt_i32_e64 s1, 5, v14
	v_cmp_eq_u32_e64 s2, 3, v14
	s_wait_alu 0xfffd
	v_cndmask_b32_e64 v7, 0, 1, vcc_lo
	v_cmp_lt_i32_e32 vcc_lo, 5, v13
	v_lshl_or_b32 v5, v5, 9, 0x7c00
	s_delay_alu instid0(VALU_DEP_3)
	v_lshl_or_b32 v7, v7, 9, 0x7c00
	s_or_b32 vcc_lo, s0, vcc_lo
	s_wait_alu 0xfffe
	v_add_co_ci_u32_e32 v11, vcc_lo, 0, v11, vcc_lo
	s_or_b32 vcc_lo, s2, s1
	s_wait_alu 0xfffe
	v_add_co_ci_u32_e32 v9, vcc_lo, 0, v9, vcc_lo
	v_cmp_gt_i32_e32 vcc_lo, 31, v10
	s_wait_alu 0xfffd
	v_cndmask_b32_e32 v11, 0x7c00, v11, vcc_lo
	v_cmp_gt_i32_e32 vcc_lo, 31, v12
	s_wait_alu 0xfffd
	v_cndmask_b32_e32 v9, 0x7c00, v9, vcc_lo
	v_cmp_eq_u32_e32 vcc_lo, 0x40f, v10
	s_wait_alu 0xfffd
	v_cndmask_b32_e32 v5, v11, v5, vcc_lo
	v_cmp_eq_u32_e32 vcc_lo, 0x40f, v12
	s_delay_alu instid0(VALU_DEP_2)
	v_and_or_b32 v5, 0x8000, v6, v5
	s_wait_alu 0xfffd
	v_cndmask_b32_e32 v7, v9, v7, vcc_lo
	v_add_co_u32 v3, vcc_lo, v3, s4
	s_wait_alu 0xfffd
	v_add_co_ci_u32_e32 v4, vcc_lo, s5, v4, vcc_lo
	s_delay_alu instid0(VALU_DEP_3) | instskip(SKIP_1) | instid1(VALU_DEP_1)
	v_and_or_b32 v6, 0x8000, v8, v7
	v_and_b32_e32 v5, 0xffff, v5
	v_lshl_or_b32 v5, v6, 16, v5
	global_store_b32 v[3:4], v5, off
	global_load_b32 v7, v43, s[12:13] offset:1260
	ds_load_2addr_b32 v[5:6], v2 offset0:59 offset1:122
	s_wait_dscnt 0x0
	v_lshrrev_b32_e32 v8, 16, v5
	s_wait_loadcnt 0x0
	v_lshrrev_b32_e32 v9, 16, v7
	s_delay_alu instid0(VALU_DEP_1) | instskip(SKIP_1) | instid1(VALU_DEP_2)
	v_mul_f16_e32 v10, v8, v9
	v_mul_f16_e32 v9, v5, v9
	v_fmac_f16_e32 v10, v5, v7
	s_delay_alu instid0(VALU_DEP_2) | instskip(NEXT) | instid1(VALU_DEP_2)
	v_fma_f16 v5, v7, v8, -v9
	v_cvt_f32_f16_e32 v7, v10
	s_delay_alu instid0(VALU_DEP_2) | instskip(NEXT) | instid1(VALU_DEP_2)
	v_cvt_f32_f16_e32 v5, v5
	v_cvt_f64_f32_e32 v[7:8], v7
	s_delay_alu instid0(VALU_DEP_2) | instskip(NEXT) | instid1(VALU_DEP_2)
	v_cvt_f64_f32_e32 v[9:10], v5
	v_mul_f64_e32 v[7:8], s[8:9], v[7:8]
	s_delay_alu instid0(VALU_DEP_2) | instskip(NEXT) | instid1(VALU_DEP_2)
	v_mul_f64_e32 v[9:10], s[8:9], v[9:10]
	v_and_or_b32 v5, 0x1ff, v8, v7
	s_delay_alu instid0(VALU_DEP_2)
	v_and_or_b32 v9, 0x1ff, v10, v9
	v_lshrrev_b32_e32 v7, 8, v8
	v_bfe_u32 v11, v8, 20, 11
	v_lshrrev_b32_e32 v12, 8, v10
	v_cmp_ne_u32_e32 vcc_lo, 0, v5
	v_bfe_u32 v13, v10, 20, 11
	v_lshrrev_b32_e32 v8, 16, v8
	v_sub_nc_u32_e32 v14, 0x3f1, v11
	v_add_nc_u32_e32 v11, 0xfffffc10, v11
	s_wait_alu 0xfffd
	v_cndmask_b32_e64 v5, 0, 1, vcc_lo
	v_cmp_ne_u32_e32 vcc_lo, 0, v9
	v_lshrrev_b32_e32 v10, 16, v10
	s_delay_alu instid0(VALU_DEP_3) | instskip(SKIP_4) | instid1(VALU_DEP_3)
	v_and_or_b32 v5, 0xffe, v7, v5
	s_wait_alu 0xfffd
	v_cndmask_b32_e64 v9, 0, 1, vcc_lo
	v_sub_nc_u32_e32 v7, 0x3f1, v13
	v_add_nc_u32_e32 v13, 0xfffffc10, v13
	v_and_or_b32 v9, 0xffe, v12, v9
	v_med3_i32 v12, v14, 0, 13
	v_or_b32_e32 v14, 0x1000, v5
	v_med3_i32 v7, v7, 0, 13
	s_delay_alu instid0(VALU_DEP_4) | instskip(NEXT) | instid1(VALU_DEP_3)
	v_or_b32_e32 v15, 0x1000, v9
	v_lshrrev_b32_e32 v16, v12, v14
	s_delay_alu instid0(VALU_DEP_2) | instskip(NEXT) | instid1(VALU_DEP_2)
	v_lshrrev_b32_e32 v17, v7, v15
	v_lshlrev_b32_e32 v12, v12, v16
	s_delay_alu instid0(VALU_DEP_2) | instskip(NEXT) | instid1(VALU_DEP_2)
	v_lshlrev_b32_e32 v7, v7, v17
	v_cmp_ne_u32_e32 vcc_lo, v12, v14
	v_lshl_or_b32 v14, v11, 12, v5
	s_wait_alu 0xfffd
	v_cndmask_b32_e64 v12, 0, 1, vcc_lo
	v_cmp_ne_u32_e32 vcc_lo, v7, v15
	v_lshl_or_b32 v15, v13, 12, v9
	s_delay_alu instid0(VALU_DEP_3) | instskip(SKIP_3) | instid1(VALU_DEP_2)
	v_or_b32_e32 v12, v16, v12
	s_wait_alu 0xfffd
	v_cndmask_b32_e64 v7, 0, 1, vcc_lo
	v_cmp_gt_i32_e32 vcc_lo, 1, v11
	v_or_b32_e32 v7, v17, v7
	s_wait_alu 0xfffd
	v_cndmask_b32_e32 v12, v14, v12, vcc_lo
	v_cmp_gt_i32_e32 vcc_lo, 1, v13
	s_wait_alu 0xfffd
	s_delay_alu instid0(VALU_DEP_2) | instskip(SKIP_2) | instid1(VALU_DEP_3)
	v_dual_cndmask_b32 v7, v15, v7 :: v_dual_and_b32 v14, 7, v12
	v_cmp_ne_u32_e32 vcc_lo, 0, v5
	v_lshrrev_b32_e32 v12, 2, v12
	v_cmp_eq_u32_e64 s0, 3, v14
	s_delay_alu instid0(VALU_DEP_4)
	v_and_b32_e32 v15, 7, v7
	s_wait_alu 0xfffd
	v_cndmask_b32_e64 v5, 0, 1, vcc_lo
	v_cmp_ne_u32_e32 vcc_lo, 0, v9
	v_lshrrev_b32_e32 v7, 2, v7
	v_cmp_lt_i32_e64 s1, 5, v15
	v_cmp_eq_u32_e64 s2, 3, v15
	s_wait_alu 0xfffd
	v_cndmask_b32_e64 v9, 0, 1, vcc_lo
	v_cmp_lt_i32_e32 vcc_lo, 5, v14
	v_lshl_or_b32 v5, v5, 9, 0x7c00
	s_delay_alu instid0(VALU_DEP_3)
	v_lshl_or_b32 v9, v9, 9, 0x7c00
	s_or_b32 vcc_lo, s0, vcc_lo
	s_wait_alu 0xfffe
	v_add_co_ci_u32_e32 v12, vcc_lo, 0, v12, vcc_lo
	s_or_b32 vcc_lo, s2, s1
	s_wait_alu 0xfffe
	v_add_co_ci_u32_e32 v7, vcc_lo, 0, v7, vcc_lo
	v_cmp_gt_i32_e32 vcc_lo, 31, v11
	s_wait_alu 0xfffd
	v_cndmask_b32_e32 v12, 0x7c00, v12, vcc_lo
	v_cmp_gt_i32_e32 vcc_lo, 31, v13
	s_wait_alu 0xfffd
	v_cndmask_b32_e32 v7, 0x7c00, v7, vcc_lo
	v_cmp_eq_u32_e32 vcc_lo, 0x40f, v11
	s_wait_alu 0xfffd
	v_cndmask_b32_e32 v5, v12, v5, vcc_lo
	v_cmp_eq_u32_e32 vcc_lo, 0x40f, v13
	s_delay_alu instid0(VALU_DEP_2)
	v_and_or_b32 v5, 0x8000, v8, v5
	s_wait_alu 0xfffd
	v_cndmask_b32_e32 v7, v7, v9, vcc_lo
	v_add_co_u32 v3, vcc_lo, v3, s4
	s_wait_alu 0xfffd
	v_add_co_ci_u32_e32 v4, vcc_lo, s5, v4, vcc_lo
	s_delay_alu instid0(VALU_DEP_3) | instskip(SKIP_1) | instid1(VALU_DEP_1)
	v_and_or_b32 v7, 0x8000, v10, v7
	v_and_b32_e32 v5, 0xffff, v5
	v_lshl_or_b32 v5, v7, 16, v5
	v_lshrrev_b32_e32 v7, 16, v6
	global_store_b32 v[3:4], v5, off
	global_load_b32 v5, v43, s[12:13] offset:1512
	s_wait_loadcnt 0x0
	v_lshrrev_b32_e32 v8, 16, v5
	s_delay_alu instid0(VALU_DEP_1) | instskip(SKIP_1) | instid1(VALU_DEP_2)
	v_mul_f16_e32 v9, v7, v8
	v_mul_f16_e32 v8, v6, v8
	v_fmac_f16_e32 v9, v6, v5
	s_delay_alu instid0(VALU_DEP_2) | instskip(NEXT) | instid1(VALU_DEP_2)
	v_fma_f16 v5, v5, v7, -v8
	v_cvt_f32_f16_e32 v6, v9
	s_delay_alu instid0(VALU_DEP_2) | instskip(NEXT) | instid1(VALU_DEP_2)
	v_cvt_f32_f16_e32 v7, v5
	v_cvt_f64_f32_e32 v[5:6], v6
	s_delay_alu instid0(VALU_DEP_2) | instskip(NEXT) | instid1(VALU_DEP_2)
	v_cvt_f64_f32_e32 v[7:8], v7
	v_mul_f64_e32 v[5:6], s[8:9], v[5:6]
	s_delay_alu instid0(VALU_DEP_2) | instskip(NEXT) | instid1(VALU_DEP_2)
	v_mul_f64_e32 v[7:8], s[8:9], v[7:8]
	v_and_or_b32 v5, 0x1ff, v6, v5
	s_delay_alu instid0(VALU_DEP_2)
	v_and_or_b32 v7, 0x1ff, v8, v7
	v_lshrrev_b32_e32 v9, 8, v6
	v_bfe_u32 v10, v6, 20, 11
	v_lshrrev_b32_e32 v11, 8, v8
	v_cmp_ne_u32_e32 vcc_lo, 0, v5
	v_bfe_u32 v12, v8, 20, 11
	v_lshrrev_b32_e32 v6, 16, v6
	v_sub_nc_u32_e32 v13, 0x3f1, v10
	v_add_nc_u32_e32 v10, 0xfffffc10, v10
	s_wait_alu 0xfffd
	v_cndmask_b32_e64 v5, 0, 1, vcc_lo
	v_cmp_ne_u32_e32 vcc_lo, 0, v7
	v_lshrrev_b32_e32 v8, 16, v8
	s_delay_alu instid0(VALU_DEP_3) | instskip(SKIP_4) | instid1(VALU_DEP_3)
	v_and_or_b32 v5, 0xffe, v9, v5
	s_wait_alu 0xfffd
	v_cndmask_b32_e64 v7, 0, 1, vcc_lo
	v_sub_nc_u32_e32 v9, 0x3f1, v12
	v_add_nc_u32_e32 v12, 0xfffffc10, v12
	v_and_or_b32 v7, 0xffe, v11, v7
	v_med3_i32 v11, v13, 0, 13
	v_or_b32_e32 v13, 0x1000, v5
	v_med3_i32 v9, v9, 0, 13
	s_delay_alu instid0(VALU_DEP_4) | instskip(NEXT) | instid1(VALU_DEP_3)
	v_or_b32_e32 v14, 0x1000, v7
	v_lshrrev_b32_e32 v15, v11, v13
	s_delay_alu instid0(VALU_DEP_2) | instskip(NEXT) | instid1(VALU_DEP_2)
	v_lshrrev_b32_e32 v16, v9, v14
	v_lshlrev_b32_e32 v11, v11, v15
	s_delay_alu instid0(VALU_DEP_2) | instskip(NEXT) | instid1(VALU_DEP_2)
	v_lshlrev_b32_e32 v9, v9, v16
	v_cmp_ne_u32_e32 vcc_lo, v11, v13
	v_lshl_or_b32 v13, v10, 12, v5
	s_wait_alu 0xfffd
	v_cndmask_b32_e64 v11, 0, 1, vcc_lo
	v_cmp_ne_u32_e32 vcc_lo, v9, v14
	v_lshl_or_b32 v14, v12, 12, v7
	s_delay_alu instid0(VALU_DEP_3) | instskip(SKIP_3) | instid1(VALU_DEP_2)
	v_or_b32_e32 v11, v15, v11
	s_wait_alu 0xfffd
	v_cndmask_b32_e64 v9, 0, 1, vcc_lo
	v_cmp_gt_i32_e32 vcc_lo, 1, v10
	v_or_b32_e32 v9, v16, v9
	s_wait_alu 0xfffd
	v_cndmask_b32_e32 v11, v13, v11, vcc_lo
	v_cmp_gt_i32_e32 vcc_lo, 1, v12
	s_delay_alu instid0(VALU_DEP_2)
	v_and_b32_e32 v13, 7, v11
	s_wait_alu 0xfffd
	v_cndmask_b32_e32 v9, v14, v9, vcc_lo
	v_cmp_ne_u32_e32 vcc_lo, 0, v5
	v_lshrrev_b32_e32 v11, 2, v11
	v_cmp_eq_u32_e64 s0, 3, v13
	s_delay_alu instid0(VALU_DEP_4)
	v_and_b32_e32 v14, 7, v9
	s_wait_alu 0xfffd
	v_cndmask_b32_e64 v5, 0, 1, vcc_lo
	v_cmp_ne_u32_e32 vcc_lo, 0, v7
	v_lshrrev_b32_e32 v9, 2, v9
	v_cmp_lt_i32_e64 s1, 5, v14
	v_cmp_eq_u32_e64 s2, 3, v14
	s_wait_alu 0xfffd
	v_cndmask_b32_e64 v7, 0, 1, vcc_lo
	v_cmp_lt_i32_e32 vcc_lo, 5, v13
	v_lshl_or_b32 v5, v5, 9, 0x7c00
	s_delay_alu instid0(VALU_DEP_3)
	v_lshl_or_b32 v7, v7, 9, 0x7c00
	s_or_b32 vcc_lo, s0, vcc_lo
	s_wait_alu 0xfffe
	v_add_co_ci_u32_e32 v11, vcc_lo, 0, v11, vcc_lo
	s_or_b32 vcc_lo, s2, s1
	s_wait_alu 0xfffe
	v_add_co_ci_u32_e32 v9, vcc_lo, 0, v9, vcc_lo
	v_cmp_gt_i32_e32 vcc_lo, 31, v10
	s_wait_alu 0xfffd
	v_cndmask_b32_e32 v11, 0x7c00, v11, vcc_lo
	v_cmp_gt_i32_e32 vcc_lo, 31, v12
	s_wait_alu 0xfffd
	v_cndmask_b32_e32 v9, 0x7c00, v9, vcc_lo
	v_cmp_eq_u32_e32 vcc_lo, 0x40f, v10
	s_wait_alu 0xfffd
	v_cndmask_b32_e32 v5, v11, v5, vcc_lo
	v_cmp_eq_u32_e32 vcc_lo, 0x40f, v12
	s_delay_alu instid0(VALU_DEP_2)
	v_and_or_b32 v5, 0x8000, v6, v5
	s_wait_alu 0xfffd
	v_cndmask_b32_e32 v7, v9, v7, vcc_lo
	v_add_co_u32 v3, vcc_lo, v3, s4
	s_wait_alu 0xfffd
	v_add_co_ci_u32_e32 v4, vcc_lo, s5, v4, vcc_lo
	s_delay_alu instid0(VALU_DEP_3) | instskip(SKIP_1) | instid1(VALU_DEP_1)
	v_and_or_b32 v6, 0x8000, v8, v7
	v_and_b32_e32 v5, 0xffff, v5
	v_lshl_or_b32 v5, v6, 16, v5
	global_store_b32 v[3:4], v5, off
	global_load_b32 v7, v43, s[12:13] offset:1764
	ds_load_2addr_b32 v[5:6], v2 offset0:185 offset1:248
	s_wait_dscnt 0x0
	v_lshrrev_b32_e32 v2, 16, v5
	s_wait_loadcnt 0x0
	v_lshrrev_b32_e32 v8, 16, v7
	s_delay_alu instid0(VALU_DEP_1) | instskip(SKIP_1) | instid1(VALU_DEP_2)
	v_mul_f16_e32 v9, v2, v8
	v_mul_f16_e32 v8, v5, v8
	v_fmac_f16_e32 v9, v5, v7
	s_delay_alu instid0(VALU_DEP_2) | instskip(NEXT) | instid1(VALU_DEP_2)
	v_fma_f16 v2, v7, v2, -v8
	v_cvt_f32_f16_e32 v5, v9
	s_delay_alu instid0(VALU_DEP_2) | instskip(NEXT) | instid1(VALU_DEP_2)
	v_cvt_f32_f16_e32 v2, v2
	v_cvt_f64_f32_e32 v[7:8], v5
	s_delay_alu instid0(VALU_DEP_2) | instskip(NEXT) | instid1(VALU_DEP_2)
	v_cvt_f64_f32_e32 v[9:10], v2
	v_mul_f64_e32 v[7:8], s[8:9], v[7:8]
	s_delay_alu instid0(VALU_DEP_2) | instskip(NEXT) | instid1(VALU_DEP_2)
	v_mul_f64_e32 v[9:10], s[8:9], v[9:10]
	v_and_or_b32 v2, 0x1ff, v8, v7
	s_delay_alu instid0(VALU_DEP_2)
	v_and_or_b32 v9, 0x1ff, v10, v9
	v_lshrrev_b32_e32 v5, 8, v8
	v_bfe_u32 v7, v8, 20, 11
	v_lshrrev_b32_e32 v11, 8, v10
	v_cmp_ne_u32_e32 vcc_lo, 0, v2
	v_bfe_u32 v12, v10, 20, 11
	v_lshrrev_b32_e32 v8, 16, v8
	v_sub_nc_u32_e32 v13, 0x3f1, v7
	v_add_nc_u32_e32 v7, 0xfffffc10, v7
	s_wait_alu 0xfffd
	v_cndmask_b32_e64 v2, 0, 1, vcc_lo
	v_cmp_ne_u32_e32 vcc_lo, 0, v9
	s_delay_alu instid0(VALU_DEP_2) | instskip(SKIP_4) | instid1(VALU_DEP_3)
	v_and_or_b32 v2, 0xffe, v5, v2
	s_wait_alu 0xfffd
	v_cndmask_b32_e64 v9, 0, 1, vcc_lo
	v_sub_nc_u32_e32 v5, 0x3f1, v12
	v_add_nc_u32_e32 v12, 0xfffffc10, v12
	v_and_or_b32 v9, 0xffe, v11, v9
	v_med3_i32 v11, v13, 0, 13
	v_or_b32_e32 v13, 0x1000, v2
	v_med3_i32 v5, v5, 0, 13
	s_delay_alu instid0(VALU_DEP_4) | instskip(NEXT) | instid1(VALU_DEP_3)
	v_or_b32_e32 v14, 0x1000, v9
	v_lshrrev_b32_e32 v15, v11, v13
	s_delay_alu instid0(VALU_DEP_2) | instskip(NEXT) | instid1(VALU_DEP_2)
	v_lshrrev_b32_e32 v16, v5, v14
	v_lshlrev_b32_e32 v11, v11, v15
	s_delay_alu instid0(VALU_DEP_2) | instskip(NEXT) | instid1(VALU_DEP_2)
	v_lshlrev_b32_e32 v5, v5, v16
	v_cmp_ne_u32_e32 vcc_lo, v11, v13
	v_lshl_or_b32 v13, v7, 12, v2
	s_wait_alu 0xfffd
	v_cndmask_b32_e64 v11, 0, 1, vcc_lo
	v_cmp_ne_u32_e32 vcc_lo, v5, v14
	v_lshl_or_b32 v14, v12, 12, v9
	s_delay_alu instid0(VALU_DEP_3) | instskip(SKIP_3) | instid1(VALU_DEP_2)
	v_or_b32_e32 v11, v15, v11
	s_wait_alu 0xfffd
	v_cndmask_b32_e64 v5, 0, 1, vcc_lo
	v_cmp_gt_i32_e32 vcc_lo, 1, v7
	v_or_b32_e32 v5, v16, v5
	s_wait_alu 0xfffd
	v_cndmask_b32_e32 v11, v13, v11, vcc_lo
	v_cmp_gt_i32_e32 vcc_lo, 1, v12
	s_delay_alu instid0(VALU_DEP_2)
	v_and_b32_e32 v13, 7, v11
	s_wait_alu 0xfffd
	v_cndmask_b32_e32 v5, v14, v5, vcc_lo
	v_cmp_ne_u32_e32 vcc_lo, 0, v2
	v_lshrrev_b32_e32 v11, 2, v11
	v_cmp_eq_u32_e64 s0, 3, v13
	s_delay_alu instid0(VALU_DEP_4)
	v_and_b32_e32 v14, 7, v5
	s_wait_alu 0xfffd
	v_cndmask_b32_e64 v2, 0, 1, vcc_lo
	v_cmp_ne_u32_e32 vcc_lo, 0, v9
	v_lshrrev_b32_e32 v5, 2, v5
	v_cmp_lt_i32_e64 s1, 5, v14
	v_cmp_eq_u32_e64 s2, 3, v14
	s_wait_alu 0xfffd
	v_cndmask_b32_e64 v9, 0, 1, vcc_lo
	v_cmp_lt_i32_e32 vcc_lo, 5, v13
	v_lshl_or_b32 v2, v2, 9, 0x7c00
	s_delay_alu instid0(VALU_DEP_3)
	v_lshl_or_b32 v9, v9, 9, 0x7c00
	s_or_b32 vcc_lo, s0, vcc_lo
	s_wait_alu 0xfffe
	v_add_co_ci_u32_e32 v11, vcc_lo, 0, v11, vcc_lo
	s_or_b32 vcc_lo, s2, s1
	s_wait_alu 0xfffe
	v_add_co_ci_u32_e32 v5, vcc_lo, 0, v5, vcc_lo
	v_cmp_gt_i32_e32 vcc_lo, 31, v7
	s_wait_alu 0xfffd
	v_cndmask_b32_e32 v11, 0x7c00, v11, vcc_lo
	v_cmp_gt_i32_e32 vcc_lo, 31, v12
	s_wait_alu 0xfffd
	v_cndmask_b32_e32 v5, 0x7c00, v5, vcc_lo
	v_cmp_eq_u32_e32 vcc_lo, 0x40f, v7
	v_lshrrev_b32_e32 v7, 16, v10
	s_wait_alu 0xfffd
	v_cndmask_b32_e32 v2, v11, v2, vcc_lo
	v_cmp_eq_u32_e32 vcc_lo, 0x40f, v12
	s_delay_alu instid0(VALU_DEP_2) | instskip(SKIP_2) | instid1(VALU_DEP_1)
	v_and_or_b32 v2, 0x8000, v8, v2
	s_wait_alu 0xfffd
	v_cndmask_b32_e32 v5, v5, v9, vcc_lo
	v_and_or_b32 v5, 0x8000, v7, v5
	s_delay_alu instid0(VALU_DEP_3) | instskip(SKIP_3) | instid1(VALU_DEP_3)
	v_and_b32_e32 v7, 0xffff, v2
	v_add_co_u32 v2, vcc_lo, v3, s4
	s_wait_alu 0xfffd
	v_add_co_ci_u32_e32 v3, vcc_lo, s5, v4, vcc_lo
	v_lshl_or_b32 v4, v5, 16, v7
	v_lshrrev_b32_e32 v5, 16, v6
	global_store_b32 v[2:3], v4, off
	global_load_b32 v4, v43, s[12:13] offset:2016
	s_wait_loadcnt 0x0
	v_lshrrev_b32_e32 v7, 16, v4
	s_delay_alu instid0(VALU_DEP_1) | instskip(SKIP_1) | instid1(VALU_DEP_2)
	v_mul_f16_e32 v8, v5, v7
	v_mul_f16_e32 v7, v6, v7
	v_fmac_f16_e32 v8, v6, v4
	s_delay_alu instid0(VALU_DEP_2) | instskip(NEXT) | instid1(VALU_DEP_2)
	v_fma_f16 v4, v4, v5, -v7
	v_cvt_f32_f16_e32 v5, v8
	s_delay_alu instid0(VALU_DEP_2) | instskip(NEXT) | instid1(VALU_DEP_2)
	v_cvt_f32_f16_e32 v6, v4
	v_cvt_f64_f32_e32 v[4:5], v5
	s_delay_alu instid0(VALU_DEP_2) | instskip(NEXT) | instid1(VALU_DEP_2)
	v_cvt_f64_f32_e32 v[6:7], v6
	v_mul_f64_e32 v[4:5], s[8:9], v[4:5]
	s_delay_alu instid0(VALU_DEP_2) | instskip(NEXT) | instid1(VALU_DEP_2)
	v_mul_f64_e32 v[6:7], s[8:9], v[6:7]
	v_and_or_b32 v4, 0x1ff, v5, v4
	s_delay_alu instid0(VALU_DEP_2)
	v_and_or_b32 v6, 0x1ff, v7, v6
	v_lshrrev_b32_e32 v8, 8, v5
	v_bfe_u32 v9, v5, 20, 11
	v_lshrrev_b32_e32 v10, 8, v7
	v_cmp_ne_u32_e32 vcc_lo, 0, v4
	v_bfe_u32 v11, v7, 20, 11
	v_lshrrev_b32_e32 v5, 16, v5
	v_sub_nc_u32_e32 v12, 0x3f1, v9
	v_add_nc_u32_e32 v9, 0xfffffc10, v9
	s_wait_alu 0xfffd
	v_cndmask_b32_e64 v4, 0, 1, vcc_lo
	v_cmp_ne_u32_e32 vcc_lo, 0, v6
	v_lshrrev_b32_e32 v7, 16, v7
	s_delay_alu instid0(VALU_DEP_3) | instskip(SKIP_4) | instid1(VALU_DEP_3)
	v_and_or_b32 v4, 0xffe, v8, v4
	s_wait_alu 0xfffd
	v_cndmask_b32_e64 v6, 0, 1, vcc_lo
	v_sub_nc_u32_e32 v8, 0x3f1, v11
	v_add_nc_u32_e32 v11, 0xfffffc10, v11
	v_and_or_b32 v6, 0xffe, v10, v6
	v_med3_i32 v10, v12, 0, 13
	v_or_b32_e32 v12, 0x1000, v4
	v_med3_i32 v8, v8, 0, 13
	s_delay_alu instid0(VALU_DEP_4) | instskip(NEXT) | instid1(VALU_DEP_3)
	v_or_b32_e32 v13, 0x1000, v6
	v_lshrrev_b32_e32 v14, v10, v12
	s_delay_alu instid0(VALU_DEP_2) | instskip(NEXT) | instid1(VALU_DEP_2)
	v_lshrrev_b32_e32 v15, v8, v13
	v_lshlrev_b32_e32 v10, v10, v14
	s_delay_alu instid0(VALU_DEP_2) | instskip(NEXT) | instid1(VALU_DEP_2)
	v_lshlrev_b32_e32 v8, v8, v15
	v_cmp_ne_u32_e32 vcc_lo, v10, v12
	v_lshl_or_b32 v12, v9, 12, v4
	s_wait_alu 0xfffd
	v_cndmask_b32_e64 v10, 0, 1, vcc_lo
	v_cmp_ne_u32_e32 vcc_lo, v8, v13
	v_lshl_or_b32 v13, v11, 12, v6
	s_delay_alu instid0(VALU_DEP_3) | instskip(SKIP_3) | instid1(VALU_DEP_2)
	v_or_b32_e32 v10, v14, v10
	s_wait_alu 0xfffd
	v_cndmask_b32_e64 v8, 0, 1, vcc_lo
	v_cmp_gt_i32_e32 vcc_lo, 1, v9
	v_or_b32_e32 v8, v15, v8
	s_wait_alu 0xfffd
	v_cndmask_b32_e32 v10, v12, v10, vcc_lo
	v_cmp_gt_i32_e32 vcc_lo, 1, v11
	s_delay_alu instid0(VALU_DEP_2)
	v_and_b32_e32 v12, 7, v10
	s_wait_alu 0xfffd
	v_cndmask_b32_e32 v8, v13, v8, vcc_lo
	v_cmp_ne_u32_e32 vcc_lo, 0, v4
	v_lshrrev_b32_e32 v10, 2, v10
	v_cmp_eq_u32_e64 s0, 3, v12
	s_delay_alu instid0(VALU_DEP_4)
	v_and_b32_e32 v13, 7, v8
	s_wait_alu 0xfffd
	v_cndmask_b32_e64 v4, 0, 1, vcc_lo
	v_cmp_ne_u32_e32 vcc_lo, 0, v6
	v_lshrrev_b32_e32 v8, 2, v8
	v_cmp_lt_i32_e64 s1, 5, v13
	v_cmp_eq_u32_e64 s2, 3, v13
	s_wait_alu 0xfffd
	v_cndmask_b32_e64 v6, 0, 1, vcc_lo
	v_cmp_lt_i32_e32 vcc_lo, 5, v12
	v_lshl_or_b32 v4, v4, 9, 0x7c00
	s_delay_alu instid0(VALU_DEP_3)
	v_lshl_or_b32 v6, v6, 9, 0x7c00
	s_or_b32 vcc_lo, s0, vcc_lo
	s_wait_alu 0xfffe
	v_add_co_ci_u32_e32 v10, vcc_lo, 0, v10, vcc_lo
	s_or_b32 vcc_lo, s2, s1
	s_wait_alu 0xfffe
	v_add_co_ci_u32_e32 v8, vcc_lo, 0, v8, vcc_lo
	v_cmp_gt_i32_e32 vcc_lo, 31, v9
	s_wait_alu 0xfffd
	v_cndmask_b32_e32 v10, 0x7c00, v10, vcc_lo
	v_cmp_gt_i32_e32 vcc_lo, 31, v11
	s_wait_alu 0xfffd
	v_cndmask_b32_e32 v8, 0x7c00, v8, vcc_lo
	v_cmp_eq_u32_e32 vcc_lo, 0x40f, v9
	s_wait_alu 0xfffd
	v_cndmask_b32_e32 v4, v10, v4, vcc_lo
	v_cmp_eq_u32_e32 vcc_lo, 0x40f, v11
	s_delay_alu instid0(VALU_DEP_2)
	v_and_or_b32 v4, 0x8000, v5, v4
	s_wait_alu 0xfffd
	v_cndmask_b32_e32 v6, v8, v6, vcc_lo
	v_add_co_u32 v2, vcc_lo, v2, s4
	s_wait_alu 0xfffd
	v_add_co_ci_u32_e32 v3, vcc_lo, s5, v3, vcc_lo
	s_delay_alu instid0(VALU_DEP_3) | instskip(SKIP_1) | instid1(VALU_DEP_1)
	v_and_or_b32 v5, 0x8000, v7, v6
	v_and_b32_e32 v4, 0xffff, v4
	v_lshl_or_b32 v4, v5, 16, v4
	global_store_b32 v[2:3], v4, off
	global_load_b32 v6, v43, s[12:13] offset:2268
	ds_load_2addr_b32 v[4:5], v1 offset0:55 offset1:118
	s_wait_dscnt 0x0
	v_lshrrev_b32_e32 v7, 16, v4
	s_wait_loadcnt 0x0
	v_lshrrev_b32_e32 v8, 16, v6
	s_delay_alu instid0(VALU_DEP_1) | instskip(SKIP_1) | instid1(VALU_DEP_2)
	v_mul_f16_e32 v9, v7, v8
	v_mul_f16_e32 v8, v4, v8
	v_fmac_f16_e32 v9, v4, v6
	s_delay_alu instid0(VALU_DEP_2) | instskip(NEXT) | instid1(VALU_DEP_2)
	v_fma_f16 v4, v6, v7, -v8
	v_cvt_f32_f16_e32 v6, v9
	s_delay_alu instid0(VALU_DEP_2) | instskip(NEXT) | instid1(VALU_DEP_2)
	v_cvt_f32_f16_e32 v4, v4
	v_cvt_f64_f32_e32 v[6:7], v6
	s_delay_alu instid0(VALU_DEP_2) | instskip(NEXT) | instid1(VALU_DEP_2)
	v_cvt_f64_f32_e32 v[8:9], v4
	v_mul_f64_e32 v[6:7], s[8:9], v[6:7]
	s_delay_alu instid0(VALU_DEP_2) | instskip(NEXT) | instid1(VALU_DEP_2)
	v_mul_f64_e32 v[8:9], s[8:9], v[8:9]
	v_and_or_b32 v4, 0x1ff, v7, v6
	s_delay_alu instid0(VALU_DEP_2)
	v_and_or_b32 v8, 0x1ff, v9, v8
	v_lshrrev_b32_e32 v6, 8, v7
	v_bfe_u32 v10, v7, 20, 11
	v_lshrrev_b32_e32 v11, 8, v9
	v_cmp_ne_u32_e32 vcc_lo, 0, v4
	v_bfe_u32 v12, v9, 20, 11
	v_lshrrev_b32_e32 v7, 16, v7
	v_sub_nc_u32_e32 v13, 0x3f1, v10
	v_add_nc_u32_e32 v10, 0xfffffc10, v10
	s_wait_alu 0xfffd
	v_cndmask_b32_e64 v4, 0, 1, vcc_lo
	v_cmp_ne_u32_e32 vcc_lo, 0, v8
	v_lshrrev_b32_e32 v9, 16, v9
	s_delay_alu instid0(VALU_DEP_3) | instskip(SKIP_4) | instid1(VALU_DEP_3)
	v_and_or_b32 v4, 0xffe, v6, v4
	s_wait_alu 0xfffd
	v_cndmask_b32_e64 v8, 0, 1, vcc_lo
	v_sub_nc_u32_e32 v6, 0x3f1, v12
	v_add_nc_u32_e32 v12, 0xfffffc10, v12
	v_and_or_b32 v8, 0xffe, v11, v8
	v_med3_i32 v11, v13, 0, 13
	v_or_b32_e32 v13, 0x1000, v4
	v_med3_i32 v6, v6, 0, 13
	s_delay_alu instid0(VALU_DEP_4) | instskip(NEXT) | instid1(VALU_DEP_3)
	v_or_b32_e32 v14, 0x1000, v8
	v_lshrrev_b32_e32 v15, v11, v13
	s_delay_alu instid0(VALU_DEP_2) | instskip(NEXT) | instid1(VALU_DEP_2)
	v_lshrrev_b32_e32 v16, v6, v14
	v_lshlrev_b32_e32 v11, v11, v15
	s_delay_alu instid0(VALU_DEP_2) | instskip(NEXT) | instid1(VALU_DEP_2)
	v_lshlrev_b32_e32 v6, v6, v16
	v_cmp_ne_u32_e32 vcc_lo, v11, v13
	v_lshl_or_b32 v13, v10, 12, v4
	s_wait_alu 0xfffd
	v_cndmask_b32_e64 v11, 0, 1, vcc_lo
	v_cmp_ne_u32_e32 vcc_lo, v6, v14
	v_lshl_or_b32 v14, v12, 12, v8
	s_delay_alu instid0(VALU_DEP_3) | instskip(SKIP_3) | instid1(VALU_DEP_2)
	v_or_b32_e32 v11, v15, v11
	s_wait_alu 0xfffd
	v_cndmask_b32_e64 v6, 0, 1, vcc_lo
	v_cmp_gt_i32_e32 vcc_lo, 1, v10
	v_or_b32_e32 v6, v16, v6
	s_wait_alu 0xfffd
	v_cndmask_b32_e32 v11, v13, v11, vcc_lo
	v_cmp_gt_i32_e32 vcc_lo, 1, v12
	s_wait_alu 0xfffd
	s_delay_alu instid0(VALU_DEP_2) | instskip(SKIP_2) | instid1(VALU_DEP_3)
	v_dual_cndmask_b32 v6, v14, v6 :: v_dual_and_b32 v13, 7, v11
	v_cmp_ne_u32_e32 vcc_lo, 0, v4
	v_lshrrev_b32_e32 v11, 2, v11
	v_cmp_eq_u32_e64 s0, 3, v13
	s_delay_alu instid0(VALU_DEP_4)
	v_and_b32_e32 v14, 7, v6
	s_wait_alu 0xfffd
	v_cndmask_b32_e64 v4, 0, 1, vcc_lo
	v_cmp_ne_u32_e32 vcc_lo, 0, v8
	v_lshrrev_b32_e32 v6, 2, v6
	v_cmp_lt_i32_e64 s1, 5, v14
	v_cmp_eq_u32_e64 s2, 3, v14
	s_wait_alu 0xfffd
	v_cndmask_b32_e64 v8, 0, 1, vcc_lo
	v_cmp_lt_i32_e32 vcc_lo, 5, v13
	v_lshl_or_b32 v4, v4, 9, 0x7c00
	s_delay_alu instid0(VALU_DEP_3)
	v_lshl_or_b32 v8, v8, 9, 0x7c00
	s_or_b32 vcc_lo, s0, vcc_lo
	s_wait_alu 0xfffe
	v_add_co_ci_u32_e32 v11, vcc_lo, 0, v11, vcc_lo
	s_or_b32 vcc_lo, s2, s1
	s_wait_alu 0xfffe
	v_add_co_ci_u32_e32 v6, vcc_lo, 0, v6, vcc_lo
	v_cmp_gt_i32_e32 vcc_lo, 31, v10
	s_wait_alu 0xfffd
	v_cndmask_b32_e32 v11, 0x7c00, v11, vcc_lo
	v_cmp_gt_i32_e32 vcc_lo, 31, v12
	s_wait_alu 0xfffd
	v_cndmask_b32_e32 v6, 0x7c00, v6, vcc_lo
	v_cmp_eq_u32_e32 vcc_lo, 0x40f, v10
	s_wait_alu 0xfffd
	v_cndmask_b32_e32 v4, v11, v4, vcc_lo
	v_cmp_eq_u32_e32 vcc_lo, 0x40f, v12
	s_delay_alu instid0(VALU_DEP_2)
	v_and_or_b32 v4, 0x8000, v7, v4
	s_wait_alu 0xfffd
	v_cndmask_b32_e32 v6, v6, v8, vcc_lo
	v_add_co_u32 v2, vcc_lo, v2, s4
	s_wait_alu 0xfffd
	v_add_co_ci_u32_e32 v3, vcc_lo, s5, v3, vcc_lo
	s_delay_alu instid0(VALU_DEP_3) | instskip(SKIP_1) | instid1(VALU_DEP_1)
	v_and_or_b32 v6, 0x8000, v9, v6
	v_and_b32_e32 v4, 0xffff, v4
	v_lshl_or_b32 v4, v6, 16, v4
	v_lshrrev_b32_e32 v6, 16, v5
	global_store_b32 v[2:3], v4, off
	global_load_b32 v4, v43, s[12:13] offset:2520
	s_wait_loadcnt 0x0
	v_lshrrev_b32_e32 v7, 16, v4
	s_delay_alu instid0(VALU_DEP_1) | instskip(SKIP_1) | instid1(VALU_DEP_2)
	v_mul_f16_e32 v8, v6, v7
	v_mul_f16_e32 v7, v5, v7
	v_fmac_f16_e32 v8, v5, v4
	s_delay_alu instid0(VALU_DEP_2) | instskip(NEXT) | instid1(VALU_DEP_2)
	v_fma_f16 v4, v4, v6, -v7
	v_cvt_f32_f16_e32 v5, v8
	s_delay_alu instid0(VALU_DEP_2) | instskip(NEXT) | instid1(VALU_DEP_2)
	v_cvt_f32_f16_e32 v6, v4
	v_cvt_f64_f32_e32 v[4:5], v5
	s_delay_alu instid0(VALU_DEP_2) | instskip(NEXT) | instid1(VALU_DEP_2)
	v_cvt_f64_f32_e32 v[6:7], v6
	v_mul_f64_e32 v[4:5], s[8:9], v[4:5]
	s_delay_alu instid0(VALU_DEP_2) | instskip(NEXT) | instid1(VALU_DEP_2)
	v_mul_f64_e32 v[6:7], s[8:9], v[6:7]
	v_and_or_b32 v4, 0x1ff, v5, v4
	s_delay_alu instid0(VALU_DEP_2)
	v_and_or_b32 v6, 0x1ff, v7, v6
	v_lshrrev_b32_e32 v8, 8, v5
	v_bfe_u32 v9, v5, 20, 11
	v_lshrrev_b32_e32 v10, 8, v7
	v_cmp_ne_u32_e32 vcc_lo, 0, v4
	v_bfe_u32 v11, v7, 20, 11
	v_lshrrev_b32_e32 v5, 16, v5
	v_sub_nc_u32_e32 v12, 0x3f1, v9
	v_add_nc_u32_e32 v9, 0xfffffc10, v9
	s_wait_alu 0xfffd
	v_cndmask_b32_e64 v4, 0, 1, vcc_lo
	v_cmp_ne_u32_e32 vcc_lo, 0, v6
	v_lshrrev_b32_e32 v7, 16, v7
	s_delay_alu instid0(VALU_DEP_3) | instskip(SKIP_4) | instid1(VALU_DEP_3)
	v_and_or_b32 v4, 0xffe, v8, v4
	s_wait_alu 0xfffd
	v_cndmask_b32_e64 v6, 0, 1, vcc_lo
	v_sub_nc_u32_e32 v8, 0x3f1, v11
	v_add_nc_u32_e32 v11, 0xfffffc10, v11
	v_and_or_b32 v6, 0xffe, v10, v6
	v_med3_i32 v10, v12, 0, 13
	v_or_b32_e32 v12, 0x1000, v4
	v_med3_i32 v8, v8, 0, 13
	s_delay_alu instid0(VALU_DEP_4) | instskip(NEXT) | instid1(VALU_DEP_3)
	v_or_b32_e32 v13, 0x1000, v6
	v_lshrrev_b32_e32 v14, v10, v12
	s_delay_alu instid0(VALU_DEP_2) | instskip(NEXT) | instid1(VALU_DEP_2)
	v_lshrrev_b32_e32 v15, v8, v13
	v_lshlrev_b32_e32 v10, v10, v14
	s_delay_alu instid0(VALU_DEP_2) | instskip(NEXT) | instid1(VALU_DEP_2)
	v_lshlrev_b32_e32 v8, v8, v15
	v_cmp_ne_u32_e32 vcc_lo, v10, v12
	v_lshl_or_b32 v12, v9, 12, v4
	s_wait_alu 0xfffd
	v_cndmask_b32_e64 v10, 0, 1, vcc_lo
	v_cmp_ne_u32_e32 vcc_lo, v8, v13
	v_lshl_or_b32 v13, v11, 12, v6
	s_delay_alu instid0(VALU_DEP_3) | instskip(SKIP_3) | instid1(VALU_DEP_2)
	v_or_b32_e32 v10, v14, v10
	s_wait_alu 0xfffd
	v_cndmask_b32_e64 v8, 0, 1, vcc_lo
	v_cmp_gt_i32_e32 vcc_lo, 1, v9
	v_or_b32_e32 v8, v15, v8
	s_wait_alu 0xfffd
	v_cndmask_b32_e32 v10, v12, v10, vcc_lo
	v_cmp_gt_i32_e32 vcc_lo, 1, v11
	s_delay_alu instid0(VALU_DEP_2)
	v_and_b32_e32 v12, 7, v10
	s_wait_alu 0xfffd
	v_cndmask_b32_e32 v8, v13, v8, vcc_lo
	v_cmp_ne_u32_e32 vcc_lo, 0, v4
	v_lshrrev_b32_e32 v10, 2, v10
	v_cmp_eq_u32_e64 s0, 3, v12
	s_delay_alu instid0(VALU_DEP_4)
	v_and_b32_e32 v13, 7, v8
	s_wait_alu 0xfffd
	v_cndmask_b32_e64 v4, 0, 1, vcc_lo
	v_cmp_ne_u32_e32 vcc_lo, 0, v6
	v_lshrrev_b32_e32 v8, 2, v8
	v_cmp_lt_i32_e64 s1, 5, v13
	v_cmp_eq_u32_e64 s2, 3, v13
	s_wait_alu 0xfffd
	v_cndmask_b32_e64 v6, 0, 1, vcc_lo
	v_cmp_lt_i32_e32 vcc_lo, 5, v12
	v_lshl_or_b32 v4, v4, 9, 0x7c00
	s_delay_alu instid0(VALU_DEP_3)
	v_lshl_or_b32 v6, v6, 9, 0x7c00
	s_or_b32 vcc_lo, s0, vcc_lo
	s_wait_alu 0xfffe
	v_add_co_ci_u32_e32 v10, vcc_lo, 0, v10, vcc_lo
	s_or_b32 vcc_lo, s2, s1
	s_wait_alu 0xfffe
	v_add_co_ci_u32_e32 v8, vcc_lo, 0, v8, vcc_lo
	v_cmp_gt_i32_e32 vcc_lo, 31, v9
	s_wait_alu 0xfffd
	v_cndmask_b32_e32 v10, 0x7c00, v10, vcc_lo
	v_cmp_gt_i32_e32 vcc_lo, 31, v11
	s_wait_alu 0xfffd
	v_cndmask_b32_e32 v8, 0x7c00, v8, vcc_lo
	v_cmp_eq_u32_e32 vcc_lo, 0x40f, v9
	s_wait_alu 0xfffd
	v_cndmask_b32_e32 v4, v10, v4, vcc_lo
	v_cmp_eq_u32_e32 vcc_lo, 0x40f, v11
	s_delay_alu instid0(VALU_DEP_2)
	v_and_or_b32 v4, 0x8000, v5, v4
	s_wait_alu 0xfffd
	v_cndmask_b32_e32 v6, v8, v6, vcc_lo
	v_add_co_u32 v2, vcc_lo, v2, s4
	s_wait_alu 0xfffd
	v_add_co_ci_u32_e32 v3, vcc_lo, s5, v3, vcc_lo
	s_delay_alu instid0(VALU_DEP_3) | instskip(SKIP_1) | instid1(VALU_DEP_1)
	v_and_or_b32 v5, 0x8000, v7, v6
	v_and_b32_e32 v4, 0xffff, v4
	v_lshl_or_b32 v4, v5, 16, v4
	global_store_b32 v[2:3], v4, off
	global_load_b32 v6, v43, s[12:13] offset:2772
	ds_load_2addr_b32 v[4:5], v1 offset0:181 offset1:244
	s_wait_dscnt 0x0
	v_lshrrev_b32_e32 v1, 16, v4
	s_wait_loadcnt 0x0
	v_lshrrev_b32_e32 v7, 16, v6
	s_delay_alu instid0(VALU_DEP_1) | instskip(SKIP_1) | instid1(VALU_DEP_2)
	v_mul_f16_e32 v8, v1, v7
	v_mul_f16_e32 v7, v4, v7
	v_fmac_f16_e32 v8, v4, v6
	s_delay_alu instid0(VALU_DEP_2) | instskip(NEXT) | instid1(VALU_DEP_2)
	v_fma_f16 v1, v6, v1, -v7
	v_cvt_f32_f16_e32 v4, v8
	s_delay_alu instid0(VALU_DEP_2) | instskip(NEXT) | instid1(VALU_DEP_2)
	v_cvt_f32_f16_e32 v1, v1
	v_cvt_f64_f32_e32 v[6:7], v4
	s_delay_alu instid0(VALU_DEP_2) | instskip(NEXT) | instid1(VALU_DEP_2)
	v_cvt_f64_f32_e32 v[8:9], v1
	v_mul_f64_e32 v[6:7], s[8:9], v[6:7]
	s_delay_alu instid0(VALU_DEP_2) | instskip(NEXT) | instid1(VALU_DEP_2)
	v_mul_f64_e32 v[8:9], s[8:9], v[8:9]
	v_and_or_b32 v1, 0x1ff, v7, v6
	s_delay_alu instid0(VALU_DEP_2)
	v_and_or_b32 v8, 0x1ff, v9, v8
	v_lshrrev_b32_e32 v4, 8, v7
	v_bfe_u32 v6, v7, 20, 11
	v_lshrrev_b32_e32 v10, 8, v9
	v_cmp_ne_u32_e32 vcc_lo, 0, v1
	v_bfe_u32 v11, v9, 20, 11
	v_lshrrev_b32_e32 v7, 16, v7
	v_sub_nc_u32_e32 v12, 0x3f1, v6
	v_add_nc_u32_e32 v6, 0xfffffc10, v6
	s_wait_alu 0xfffd
	v_cndmask_b32_e64 v1, 0, 1, vcc_lo
	v_cmp_ne_u32_e32 vcc_lo, 0, v8
	s_delay_alu instid0(VALU_DEP_2) | instskip(SKIP_4) | instid1(VALU_DEP_3)
	v_and_or_b32 v1, 0xffe, v4, v1
	s_wait_alu 0xfffd
	v_cndmask_b32_e64 v8, 0, 1, vcc_lo
	v_sub_nc_u32_e32 v4, 0x3f1, v11
	v_add_nc_u32_e32 v11, 0xfffffc10, v11
	v_and_or_b32 v8, 0xffe, v10, v8
	v_med3_i32 v10, v12, 0, 13
	v_or_b32_e32 v12, 0x1000, v1
	v_med3_i32 v4, v4, 0, 13
	s_delay_alu instid0(VALU_DEP_4) | instskip(NEXT) | instid1(VALU_DEP_3)
	v_or_b32_e32 v13, 0x1000, v8
	v_lshrrev_b32_e32 v14, v10, v12
	s_delay_alu instid0(VALU_DEP_2) | instskip(NEXT) | instid1(VALU_DEP_2)
	v_lshrrev_b32_e32 v15, v4, v13
	v_lshlrev_b32_e32 v10, v10, v14
	s_delay_alu instid0(VALU_DEP_2) | instskip(NEXT) | instid1(VALU_DEP_2)
	v_lshlrev_b32_e32 v4, v4, v15
	v_cmp_ne_u32_e32 vcc_lo, v10, v12
	v_lshl_or_b32 v12, v6, 12, v1
	s_wait_alu 0xfffd
	v_cndmask_b32_e64 v10, 0, 1, vcc_lo
	v_cmp_ne_u32_e32 vcc_lo, v4, v13
	v_lshl_or_b32 v13, v11, 12, v8
	s_delay_alu instid0(VALU_DEP_3) | instskip(SKIP_3) | instid1(VALU_DEP_2)
	v_or_b32_e32 v10, v14, v10
	s_wait_alu 0xfffd
	v_cndmask_b32_e64 v4, 0, 1, vcc_lo
	v_cmp_gt_i32_e32 vcc_lo, 1, v6
	v_or_b32_e32 v4, v15, v4
	s_wait_alu 0xfffd
	v_cndmask_b32_e32 v10, v12, v10, vcc_lo
	v_cmp_gt_i32_e32 vcc_lo, 1, v11
	s_delay_alu instid0(VALU_DEP_2)
	v_and_b32_e32 v12, 7, v10
	s_wait_alu 0xfffd
	v_cndmask_b32_e32 v4, v13, v4, vcc_lo
	v_cmp_ne_u32_e32 vcc_lo, 0, v1
	v_lshrrev_b32_e32 v10, 2, v10
	v_cmp_eq_u32_e64 s0, 3, v12
	s_delay_alu instid0(VALU_DEP_4)
	v_and_b32_e32 v13, 7, v4
	s_wait_alu 0xfffd
	v_cndmask_b32_e64 v1, 0, 1, vcc_lo
	v_cmp_ne_u32_e32 vcc_lo, 0, v8
	v_lshrrev_b32_e32 v4, 2, v4
	v_cmp_lt_i32_e64 s1, 5, v13
	v_cmp_eq_u32_e64 s2, 3, v13
	s_wait_alu 0xfffd
	v_cndmask_b32_e64 v8, 0, 1, vcc_lo
	v_cmp_lt_i32_e32 vcc_lo, 5, v12
	v_lshl_or_b32 v1, v1, 9, 0x7c00
	s_delay_alu instid0(VALU_DEP_3)
	v_lshl_or_b32 v8, v8, 9, 0x7c00
	s_or_b32 vcc_lo, s0, vcc_lo
	s_wait_alu 0xfffe
	v_add_co_ci_u32_e32 v10, vcc_lo, 0, v10, vcc_lo
	s_or_b32 vcc_lo, s2, s1
	s_wait_alu 0xfffe
	v_add_co_ci_u32_e32 v4, vcc_lo, 0, v4, vcc_lo
	v_cmp_gt_i32_e32 vcc_lo, 31, v6
	s_wait_alu 0xfffd
	v_cndmask_b32_e32 v10, 0x7c00, v10, vcc_lo
	v_cmp_gt_i32_e32 vcc_lo, 31, v11
	s_wait_alu 0xfffd
	v_cndmask_b32_e32 v4, 0x7c00, v4, vcc_lo
	v_cmp_eq_u32_e32 vcc_lo, 0x40f, v6
	v_lshrrev_b32_e32 v6, 16, v9
	s_wait_alu 0xfffd
	v_cndmask_b32_e32 v1, v10, v1, vcc_lo
	v_cmp_eq_u32_e32 vcc_lo, 0x40f, v11
	s_delay_alu instid0(VALU_DEP_2) | instskip(SKIP_2) | instid1(VALU_DEP_1)
	v_and_or_b32 v1, 0x8000, v7, v1
	s_wait_alu 0xfffd
	v_cndmask_b32_e32 v4, v4, v8, vcc_lo
	v_and_or_b32 v4, 0x8000, v6, v4
	s_delay_alu instid0(VALU_DEP_3) | instskip(SKIP_3) | instid1(VALU_DEP_3)
	v_and_b32_e32 v6, 0xffff, v1
	v_add_co_u32 v1, vcc_lo, v2, s4
	s_wait_alu 0xfffd
	v_add_co_ci_u32_e32 v2, vcc_lo, s5, v3, vcc_lo
	v_lshl_or_b32 v3, v4, 16, v6
	v_lshrrev_b32_e32 v4, 16, v5
	global_store_b32 v[1:2], v3, off
	global_load_b32 v3, v43, s[12:13] offset:3024
	s_wait_loadcnt 0x0
	v_lshrrev_b32_e32 v6, 16, v3
	s_delay_alu instid0(VALU_DEP_1) | instskip(SKIP_1) | instid1(VALU_DEP_2)
	v_mul_f16_e32 v7, v4, v6
	v_mul_f16_e32 v6, v5, v6
	v_fmac_f16_e32 v7, v5, v3
	s_delay_alu instid0(VALU_DEP_2) | instskip(NEXT) | instid1(VALU_DEP_2)
	v_fma_f16 v3, v3, v4, -v6
	v_cvt_f32_f16_e32 v4, v7
	s_delay_alu instid0(VALU_DEP_2) | instskip(NEXT) | instid1(VALU_DEP_2)
	v_cvt_f32_f16_e32 v5, v3
	v_cvt_f64_f32_e32 v[3:4], v4
	s_delay_alu instid0(VALU_DEP_2) | instskip(NEXT) | instid1(VALU_DEP_2)
	v_cvt_f64_f32_e32 v[5:6], v5
	v_mul_f64_e32 v[3:4], s[8:9], v[3:4]
	s_delay_alu instid0(VALU_DEP_2) | instskip(NEXT) | instid1(VALU_DEP_2)
	v_mul_f64_e32 v[5:6], s[8:9], v[5:6]
	v_and_or_b32 v3, 0x1ff, v4, v3
	s_delay_alu instid0(VALU_DEP_2)
	v_and_or_b32 v5, 0x1ff, v6, v5
	v_lshrrev_b32_e32 v7, 8, v4
	v_bfe_u32 v8, v4, 20, 11
	v_lshrrev_b32_e32 v9, 8, v6
	v_cmp_ne_u32_e32 vcc_lo, 0, v3
	v_bfe_u32 v10, v6, 20, 11
	v_lshrrev_b32_e32 v4, 16, v4
	v_sub_nc_u32_e32 v11, 0x3f1, v8
	v_add_nc_u32_e32 v8, 0xfffffc10, v8
	s_wait_alu 0xfffd
	v_cndmask_b32_e64 v3, 0, 1, vcc_lo
	v_cmp_ne_u32_e32 vcc_lo, 0, v5
	v_lshrrev_b32_e32 v6, 16, v6
	s_delay_alu instid0(VALU_DEP_3) | instskip(SKIP_4) | instid1(VALU_DEP_3)
	v_and_or_b32 v3, 0xffe, v7, v3
	s_wait_alu 0xfffd
	v_cndmask_b32_e64 v5, 0, 1, vcc_lo
	v_sub_nc_u32_e32 v7, 0x3f1, v10
	v_add_nc_u32_e32 v10, 0xfffffc10, v10
	v_and_or_b32 v5, 0xffe, v9, v5
	v_med3_i32 v9, v11, 0, 13
	v_or_b32_e32 v11, 0x1000, v3
	v_med3_i32 v7, v7, 0, 13
	s_delay_alu instid0(VALU_DEP_4) | instskip(NEXT) | instid1(VALU_DEP_3)
	v_or_b32_e32 v12, 0x1000, v5
	v_lshrrev_b32_e32 v13, v9, v11
	s_delay_alu instid0(VALU_DEP_2) | instskip(NEXT) | instid1(VALU_DEP_2)
	v_lshrrev_b32_e32 v14, v7, v12
	v_lshlrev_b32_e32 v9, v9, v13
	s_delay_alu instid0(VALU_DEP_2) | instskip(NEXT) | instid1(VALU_DEP_2)
	v_lshlrev_b32_e32 v7, v7, v14
	v_cmp_ne_u32_e32 vcc_lo, v9, v11
	v_lshl_or_b32 v11, v8, 12, v3
	s_wait_alu 0xfffd
	v_cndmask_b32_e64 v9, 0, 1, vcc_lo
	v_cmp_ne_u32_e32 vcc_lo, v7, v12
	v_lshl_or_b32 v12, v10, 12, v5
	s_delay_alu instid0(VALU_DEP_3) | instskip(SKIP_3) | instid1(VALU_DEP_2)
	v_or_b32_e32 v9, v13, v9
	s_wait_alu 0xfffd
	v_cndmask_b32_e64 v7, 0, 1, vcc_lo
	v_cmp_gt_i32_e32 vcc_lo, 1, v8
	v_or_b32_e32 v7, v14, v7
	s_wait_alu 0xfffd
	v_cndmask_b32_e32 v9, v11, v9, vcc_lo
	v_cmp_gt_i32_e32 vcc_lo, 1, v10
	s_delay_alu instid0(VALU_DEP_2)
	v_and_b32_e32 v11, 7, v9
	s_wait_alu 0xfffd
	v_cndmask_b32_e32 v7, v12, v7, vcc_lo
	v_cmp_ne_u32_e32 vcc_lo, 0, v3
	v_lshrrev_b32_e32 v9, 2, v9
	v_cmp_eq_u32_e64 s0, 3, v11
	s_delay_alu instid0(VALU_DEP_4)
	v_and_b32_e32 v12, 7, v7
	s_wait_alu 0xfffd
	v_cndmask_b32_e64 v3, 0, 1, vcc_lo
	v_cmp_ne_u32_e32 vcc_lo, 0, v5
	v_lshrrev_b32_e32 v7, 2, v7
	v_cmp_lt_i32_e64 s1, 5, v12
	v_cmp_eq_u32_e64 s2, 3, v12
	s_wait_alu 0xfffd
	v_cndmask_b32_e64 v5, 0, 1, vcc_lo
	v_cmp_lt_i32_e32 vcc_lo, 5, v11
	v_lshl_or_b32 v3, v3, 9, 0x7c00
	s_delay_alu instid0(VALU_DEP_3)
	v_lshl_or_b32 v5, v5, 9, 0x7c00
	s_or_b32 vcc_lo, s0, vcc_lo
	s_wait_alu 0xfffe
	v_add_co_ci_u32_e32 v9, vcc_lo, 0, v9, vcc_lo
	s_or_b32 vcc_lo, s2, s1
	s_wait_alu 0xfffe
	v_add_co_ci_u32_e32 v7, vcc_lo, 0, v7, vcc_lo
	v_cmp_gt_i32_e32 vcc_lo, 31, v8
	s_wait_alu 0xfffd
	v_cndmask_b32_e32 v9, 0x7c00, v9, vcc_lo
	v_cmp_gt_i32_e32 vcc_lo, 31, v10
	s_wait_alu 0xfffd
	v_cndmask_b32_e32 v7, 0x7c00, v7, vcc_lo
	v_cmp_eq_u32_e32 vcc_lo, 0x40f, v8
	s_wait_alu 0xfffd
	v_cndmask_b32_e32 v3, v9, v3, vcc_lo
	v_cmp_eq_u32_e32 vcc_lo, 0x40f, v10
	s_delay_alu instid0(VALU_DEP_2)
	v_and_or_b32 v3, 0x8000, v4, v3
	s_wait_alu 0xfffd
	v_cndmask_b32_e32 v5, v7, v5, vcc_lo
	v_add_co_u32 v1, vcc_lo, v1, s4
	s_wait_alu 0xfffd
	v_add_co_ci_u32_e32 v2, vcc_lo, s5, v2, vcc_lo
	s_delay_alu instid0(VALU_DEP_3) | instskip(SKIP_1) | instid1(VALU_DEP_1)
	v_and_or_b32 v4, 0x8000, v6, v5
	v_and_b32_e32 v3, 0xffff, v3
	v_lshl_or_b32 v3, v4, 16, v3
	global_store_b32 v[1:2], v3, off
	global_load_b32 v5, v43, s[12:13] offset:3276
	ds_load_2addr_b32 v[3:4], v0 offset0:51 offset1:114
	s_wait_dscnt 0x0
	v_lshrrev_b32_e32 v6, 16, v3
	s_wait_loadcnt 0x0
	v_lshrrev_b32_e32 v7, 16, v5
	s_delay_alu instid0(VALU_DEP_1) | instskip(SKIP_1) | instid1(VALU_DEP_2)
	v_mul_f16_e32 v8, v6, v7
	v_mul_f16_e32 v7, v3, v7
	v_fmac_f16_e32 v8, v3, v5
	s_delay_alu instid0(VALU_DEP_2) | instskip(NEXT) | instid1(VALU_DEP_2)
	v_fma_f16 v3, v5, v6, -v7
	v_cvt_f32_f16_e32 v5, v8
	s_delay_alu instid0(VALU_DEP_2) | instskip(NEXT) | instid1(VALU_DEP_2)
	v_cvt_f32_f16_e32 v3, v3
	v_cvt_f64_f32_e32 v[5:6], v5
	s_delay_alu instid0(VALU_DEP_2) | instskip(NEXT) | instid1(VALU_DEP_2)
	v_cvt_f64_f32_e32 v[7:8], v3
	v_mul_f64_e32 v[5:6], s[8:9], v[5:6]
	s_delay_alu instid0(VALU_DEP_2) | instskip(NEXT) | instid1(VALU_DEP_2)
	v_mul_f64_e32 v[7:8], s[8:9], v[7:8]
	v_and_or_b32 v3, 0x1ff, v6, v5
	s_delay_alu instid0(VALU_DEP_2)
	v_and_or_b32 v7, 0x1ff, v8, v7
	v_lshrrev_b32_e32 v5, 8, v6
	v_bfe_u32 v9, v6, 20, 11
	v_lshrrev_b32_e32 v10, 8, v8
	v_cmp_ne_u32_e32 vcc_lo, 0, v3
	v_bfe_u32 v11, v8, 20, 11
	v_lshrrev_b32_e32 v6, 16, v6
	v_sub_nc_u32_e32 v12, 0x3f1, v9
	v_add_nc_u32_e32 v9, 0xfffffc10, v9
	s_wait_alu 0xfffd
	v_cndmask_b32_e64 v3, 0, 1, vcc_lo
	v_cmp_ne_u32_e32 vcc_lo, 0, v7
	v_lshrrev_b32_e32 v8, 16, v8
	s_delay_alu instid0(VALU_DEP_3) | instskip(SKIP_4) | instid1(VALU_DEP_3)
	v_and_or_b32 v3, 0xffe, v5, v3
	s_wait_alu 0xfffd
	v_cndmask_b32_e64 v7, 0, 1, vcc_lo
	v_sub_nc_u32_e32 v5, 0x3f1, v11
	v_add_nc_u32_e32 v11, 0xfffffc10, v11
	v_and_or_b32 v7, 0xffe, v10, v7
	v_med3_i32 v10, v12, 0, 13
	v_or_b32_e32 v12, 0x1000, v3
	v_med3_i32 v5, v5, 0, 13
	s_delay_alu instid0(VALU_DEP_4) | instskip(NEXT) | instid1(VALU_DEP_3)
	v_or_b32_e32 v13, 0x1000, v7
	v_lshrrev_b32_e32 v14, v10, v12
	s_delay_alu instid0(VALU_DEP_2) | instskip(NEXT) | instid1(VALU_DEP_2)
	v_lshrrev_b32_e32 v15, v5, v13
	v_lshlrev_b32_e32 v10, v10, v14
	s_delay_alu instid0(VALU_DEP_2) | instskip(NEXT) | instid1(VALU_DEP_2)
	v_lshlrev_b32_e32 v5, v5, v15
	v_cmp_ne_u32_e32 vcc_lo, v10, v12
	v_lshl_or_b32 v12, v9, 12, v3
	s_wait_alu 0xfffd
	v_cndmask_b32_e64 v10, 0, 1, vcc_lo
	v_cmp_ne_u32_e32 vcc_lo, v5, v13
	v_lshl_or_b32 v13, v11, 12, v7
	s_delay_alu instid0(VALU_DEP_3) | instskip(SKIP_3) | instid1(VALU_DEP_2)
	v_or_b32_e32 v10, v14, v10
	s_wait_alu 0xfffd
	v_cndmask_b32_e64 v5, 0, 1, vcc_lo
	v_cmp_gt_i32_e32 vcc_lo, 1, v9
	v_or_b32_e32 v5, v15, v5
	s_wait_alu 0xfffd
	v_cndmask_b32_e32 v10, v12, v10, vcc_lo
	v_cmp_gt_i32_e32 vcc_lo, 1, v11
	s_wait_alu 0xfffd
	s_delay_alu instid0(VALU_DEP_2) | instskip(SKIP_2) | instid1(VALU_DEP_3)
	v_dual_cndmask_b32 v5, v13, v5 :: v_dual_and_b32 v12, 7, v10
	v_cmp_ne_u32_e32 vcc_lo, 0, v3
	v_lshrrev_b32_e32 v10, 2, v10
	v_cmp_eq_u32_e64 s0, 3, v12
	s_delay_alu instid0(VALU_DEP_4)
	v_and_b32_e32 v13, 7, v5
	s_wait_alu 0xfffd
	v_cndmask_b32_e64 v3, 0, 1, vcc_lo
	v_cmp_ne_u32_e32 vcc_lo, 0, v7
	v_lshrrev_b32_e32 v5, 2, v5
	v_cmp_lt_i32_e64 s1, 5, v13
	v_cmp_eq_u32_e64 s2, 3, v13
	s_wait_alu 0xfffd
	v_cndmask_b32_e64 v7, 0, 1, vcc_lo
	v_cmp_lt_i32_e32 vcc_lo, 5, v12
	v_lshl_or_b32 v3, v3, 9, 0x7c00
	s_delay_alu instid0(VALU_DEP_3)
	v_lshl_or_b32 v7, v7, 9, 0x7c00
	s_or_b32 vcc_lo, s0, vcc_lo
	s_wait_alu 0xfffe
	v_add_co_ci_u32_e32 v10, vcc_lo, 0, v10, vcc_lo
	s_or_b32 vcc_lo, s2, s1
	s_wait_alu 0xfffe
	v_add_co_ci_u32_e32 v5, vcc_lo, 0, v5, vcc_lo
	v_cmp_gt_i32_e32 vcc_lo, 31, v9
	s_wait_alu 0xfffd
	v_cndmask_b32_e32 v10, 0x7c00, v10, vcc_lo
	v_cmp_gt_i32_e32 vcc_lo, 31, v11
	s_wait_alu 0xfffd
	v_cndmask_b32_e32 v5, 0x7c00, v5, vcc_lo
	v_cmp_eq_u32_e32 vcc_lo, 0x40f, v9
	s_wait_alu 0xfffd
	v_cndmask_b32_e32 v3, v10, v3, vcc_lo
	v_cmp_eq_u32_e32 vcc_lo, 0x40f, v11
	s_delay_alu instid0(VALU_DEP_2)
	v_and_or_b32 v3, 0x8000, v6, v3
	s_wait_alu 0xfffd
	v_cndmask_b32_e32 v5, v5, v7, vcc_lo
	v_add_co_u32 v1, vcc_lo, v1, s4
	s_wait_alu 0xfffd
	v_add_co_ci_u32_e32 v2, vcc_lo, s5, v2, vcc_lo
	s_delay_alu instid0(VALU_DEP_3) | instskip(SKIP_1) | instid1(VALU_DEP_1)
	v_and_or_b32 v5, 0x8000, v8, v5
	v_and_b32_e32 v3, 0xffff, v3
	v_lshl_or_b32 v3, v5, 16, v3
	v_lshrrev_b32_e32 v5, 16, v4
	global_store_b32 v[1:2], v3, off
	global_load_b32 v3, v43, s[12:13] offset:3528
	s_wait_loadcnt 0x0
	v_lshrrev_b32_e32 v6, 16, v3
	s_delay_alu instid0(VALU_DEP_1) | instskip(SKIP_1) | instid1(VALU_DEP_2)
	v_mul_f16_e32 v7, v5, v6
	v_mul_f16_e32 v6, v4, v6
	v_fmac_f16_e32 v7, v4, v3
	s_delay_alu instid0(VALU_DEP_2) | instskip(NEXT) | instid1(VALU_DEP_2)
	v_fma_f16 v3, v3, v5, -v6
	v_cvt_f32_f16_e32 v4, v7
	s_delay_alu instid0(VALU_DEP_2) | instskip(NEXT) | instid1(VALU_DEP_2)
	v_cvt_f32_f16_e32 v5, v3
	v_cvt_f64_f32_e32 v[3:4], v4
	s_delay_alu instid0(VALU_DEP_2) | instskip(NEXT) | instid1(VALU_DEP_2)
	v_cvt_f64_f32_e32 v[5:6], v5
	v_mul_f64_e32 v[3:4], s[8:9], v[3:4]
	s_delay_alu instid0(VALU_DEP_2) | instskip(NEXT) | instid1(VALU_DEP_2)
	v_mul_f64_e32 v[5:6], s[8:9], v[5:6]
	v_and_or_b32 v3, 0x1ff, v4, v3
	s_delay_alu instid0(VALU_DEP_2)
	v_and_or_b32 v5, 0x1ff, v6, v5
	v_lshrrev_b32_e32 v7, 8, v4
	v_bfe_u32 v8, v4, 20, 11
	v_lshrrev_b32_e32 v9, 8, v6
	v_cmp_ne_u32_e32 vcc_lo, 0, v3
	v_bfe_u32 v10, v6, 20, 11
	v_lshrrev_b32_e32 v4, 16, v4
	v_sub_nc_u32_e32 v11, 0x3f1, v8
	v_add_nc_u32_e32 v8, 0xfffffc10, v8
	s_wait_alu 0xfffd
	v_cndmask_b32_e64 v3, 0, 1, vcc_lo
	v_cmp_ne_u32_e32 vcc_lo, 0, v5
	v_lshrrev_b32_e32 v6, 16, v6
	s_delay_alu instid0(VALU_DEP_3) | instskip(SKIP_4) | instid1(VALU_DEP_3)
	v_and_or_b32 v3, 0xffe, v7, v3
	s_wait_alu 0xfffd
	v_cndmask_b32_e64 v5, 0, 1, vcc_lo
	v_sub_nc_u32_e32 v7, 0x3f1, v10
	v_add_nc_u32_e32 v10, 0xfffffc10, v10
	v_and_or_b32 v5, 0xffe, v9, v5
	v_med3_i32 v9, v11, 0, 13
	v_or_b32_e32 v11, 0x1000, v3
	v_med3_i32 v7, v7, 0, 13
	s_delay_alu instid0(VALU_DEP_4) | instskip(NEXT) | instid1(VALU_DEP_3)
	v_or_b32_e32 v12, 0x1000, v5
	v_lshrrev_b32_e32 v13, v9, v11
	s_delay_alu instid0(VALU_DEP_2) | instskip(NEXT) | instid1(VALU_DEP_2)
	v_lshrrev_b32_e32 v14, v7, v12
	v_lshlrev_b32_e32 v9, v9, v13
	s_delay_alu instid0(VALU_DEP_2) | instskip(NEXT) | instid1(VALU_DEP_2)
	v_lshlrev_b32_e32 v7, v7, v14
	v_cmp_ne_u32_e32 vcc_lo, v9, v11
	v_lshl_or_b32 v11, v8, 12, v3
	s_wait_alu 0xfffd
	v_cndmask_b32_e64 v9, 0, 1, vcc_lo
	v_cmp_ne_u32_e32 vcc_lo, v7, v12
	v_lshl_or_b32 v12, v10, 12, v5
	s_delay_alu instid0(VALU_DEP_3) | instskip(SKIP_3) | instid1(VALU_DEP_2)
	v_or_b32_e32 v9, v13, v9
	s_wait_alu 0xfffd
	v_cndmask_b32_e64 v7, 0, 1, vcc_lo
	v_cmp_gt_i32_e32 vcc_lo, 1, v8
	v_or_b32_e32 v7, v14, v7
	s_wait_alu 0xfffd
	v_cndmask_b32_e32 v9, v11, v9, vcc_lo
	v_cmp_gt_i32_e32 vcc_lo, 1, v10
	s_delay_alu instid0(VALU_DEP_2)
	v_and_b32_e32 v11, 7, v9
	s_wait_alu 0xfffd
	v_cndmask_b32_e32 v7, v12, v7, vcc_lo
	v_cmp_ne_u32_e32 vcc_lo, 0, v3
	v_lshrrev_b32_e32 v9, 2, v9
	v_cmp_eq_u32_e64 s0, 3, v11
	s_delay_alu instid0(VALU_DEP_4)
	v_and_b32_e32 v12, 7, v7
	s_wait_alu 0xfffd
	v_cndmask_b32_e64 v3, 0, 1, vcc_lo
	v_cmp_ne_u32_e32 vcc_lo, 0, v5
	v_lshrrev_b32_e32 v7, 2, v7
	v_cmp_lt_i32_e64 s1, 5, v12
	v_cmp_eq_u32_e64 s2, 3, v12
	s_wait_alu 0xfffd
	v_cndmask_b32_e64 v5, 0, 1, vcc_lo
	v_cmp_lt_i32_e32 vcc_lo, 5, v11
	v_lshl_or_b32 v3, v3, 9, 0x7c00
	s_delay_alu instid0(VALU_DEP_3)
	v_lshl_or_b32 v5, v5, 9, 0x7c00
	s_or_b32 vcc_lo, s0, vcc_lo
	s_wait_alu 0xfffe
	v_add_co_ci_u32_e32 v9, vcc_lo, 0, v9, vcc_lo
	s_or_b32 vcc_lo, s2, s1
	s_wait_alu 0xfffe
	v_add_co_ci_u32_e32 v7, vcc_lo, 0, v7, vcc_lo
	v_cmp_gt_i32_e32 vcc_lo, 31, v8
	s_wait_alu 0xfffd
	v_cndmask_b32_e32 v9, 0x7c00, v9, vcc_lo
	v_cmp_gt_i32_e32 vcc_lo, 31, v10
	s_wait_alu 0xfffd
	v_cndmask_b32_e32 v7, 0x7c00, v7, vcc_lo
	v_cmp_eq_u32_e32 vcc_lo, 0x40f, v8
	s_wait_alu 0xfffd
	v_cndmask_b32_e32 v3, v9, v3, vcc_lo
	v_cmp_eq_u32_e32 vcc_lo, 0x40f, v10
	s_delay_alu instid0(VALU_DEP_2)
	v_and_or_b32 v3, 0x8000, v4, v3
	s_wait_alu 0xfffd
	v_cndmask_b32_e32 v5, v7, v5, vcc_lo
	v_add_co_u32 v1, vcc_lo, v1, s4
	s_wait_alu 0xfffd
	v_add_co_ci_u32_e32 v2, vcc_lo, s5, v2, vcc_lo
	s_delay_alu instid0(VALU_DEP_3) | instskip(SKIP_1) | instid1(VALU_DEP_1)
	v_and_or_b32 v4, 0x8000, v6, v5
	v_and_b32_e32 v3, 0xffff, v3
	v_lshl_or_b32 v3, v4, 16, v3
	global_store_b32 v[1:2], v3, off
	global_load_b32 v5, v43, s[12:13] offset:3780
	ds_load_2addr_b32 v[3:4], v0 offset0:177 offset1:240
	s_wait_dscnt 0x0
	v_lshrrev_b32_e32 v0, 16, v3
	s_wait_loadcnt 0x0
	v_lshrrev_b32_e32 v6, 16, v5
	s_delay_alu instid0(VALU_DEP_1) | instskip(SKIP_1) | instid1(VALU_DEP_2)
	v_mul_f16_e32 v7, v0, v6
	v_mul_f16_e32 v6, v3, v6
	v_fmac_f16_e32 v7, v3, v5
	s_delay_alu instid0(VALU_DEP_2) | instskip(NEXT) | instid1(VALU_DEP_2)
	v_fma_f16 v0, v5, v0, -v6
	v_cvt_f32_f16_e32 v3, v7
	s_delay_alu instid0(VALU_DEP_2) | instskip(NEXT) | instid1(VALU_DEP_2)
	v_cvt_f32_f16_e32 v0, v0
	v_cvt_f64_f32_e32 v[5:6], v3
	s_delay_alu instid0(VALU_DEP_2) | instskip(NEXT) | instid1(VALU_DEP_2)
	v_cvt_f64_f32_e32 v[7:8], v0
	v_mul_f64_e32 v[5:6], s[8:9], v[5:6]
	s_delay_alu instid0(VALU_DEP_2) | instskip(NEXT) | instid1(VALU_DEP_2)
	v_mul_f64_e32 v[7:8], s[8:9], v[7:8]
	v_and_or_b32 v0, 0x1ff, v6, v5
	s_delay_alu instid0(VALU_DEP_2)
	v_and_or_b32 v7, 0x1ff, v8, v7
	v_lshrrev_b32_e32 v3, 8, v6
	v_bfe_u32 v5, v6, 20, 11
	v_lshrrev_b32_e32 v9, 8, v8
	v_cmp_ne_u32_e32 vcc_lo, 0, v0
	v_bfe_u32 v10, v8, 20, 11
	v_lshrrev_b32_e32 v6, 16, v6
	v_sub_nc_u32_e32 v11, 0x3f1, v5
	v_add_nc_u32_e32 v5, 0xfffffc10, v5
	s_wait_alu 0xfffd
	v_cndmask_b32_e64 v0, 0, 1, vcc_lo
	v_cmp_ne_u32_e32 vcc_lo, 0, v7
	s_delay_alu instid0(VALU_DEP_2) | instskip(SKIP_4) | instid1(VALU_DEP_3)
	v_and_or_b32 v0, 0xffe, v3, v0
	s_wait_alu 0xfffd
	v_cndmask_b32_e64 v7, 0, 1, vcc_lo
	v_sub_nc_u32_e32 v3, 0x3f1, v10
	v_add_nc_u32_e32 v10, 0xfffffc10, v10
	v_and_or_b32 v7, 0xffe, v9, v7
	v_med3_i32 v9, v11, 0, 13
	v_or_b32_e32 v11, 0x1000, v0
	v_med3_i32 v3, v3, 0, 13
	s_delay_alu instid0(VALU_DEP_4) | instskip(NEXT) | instid1(VALU_DEP_3)
	v_or_b32_e32 v12, 0x1000, v7
	v_lshrrev_b32_e32 v13, v9, v11
	s_delay_alu instid0(VALU_DEP_2) | instskip(NEXT) | instid1(VALU_DEP_2)
	v_lshrrev_b32_e32 v14, v3, v12
	v_lshlrev_b32_e32 v9, v9, v13
	s_delay_alu instid0(VALU_DEP_2) | instskip(NEXT) | instid1(VALU_DEP_2)
	v_lshlrev_b32_e32 v3, v3, v14
	v_cmp_ne_u32_e32 vcc_lo, v9, v11
	v_lshl_or_b32 v11, v5, 12, v0
	s_wait_alu 0xfffd
	v_cndmask_b32_e64 v9, 0, 1, vcc_lo
	v_cmp_ne_u32_e32 vcc_lo, v3, v12
	v_lshl_or_b32 v12, v10, 12, v7
	s_delay_alu instid0(VALU_DEP_3) | instskip(SKIP_3) | instid1(VALU_DEP_2)
	v_or_b32_e32 v9, v13, v9
	s_wait_alu 0xfffd
	v_cndmask_b32_e64 v3, 0, 1, vcc_lo
	v_cmp_gt_i32_e32 vcc_lo, 1, v5
	v_or_b32_e32 v3, v14, v3
	s_wait_alu 0xfffd
	v_cndmask_b32_e32 v9, v11, v9, vcc_lo
	v_cmp_gt_i32_e32 vcc_lo, 1, v10
	s_delay_alu instid0(VALU_DEP_2)
	v_and_b32_e32 v11, 7, v9
	s_wait_alu 0xfffd
	v_cndmask_b32_e32 v3, v12, v3, vcc_lo
	v_cmp_ne_u32_e32 vcc_lo, 0, v0
	v_lshrrev_b32_e32 v9, 2, v9
	v_cmp_eq_u32_e64 s0, 3, v11
	s_delay_alu instid0(VALU_DEP_4)
	v_and_b32_e32 v12, 7, v3
	s_wait_alu 0xfffd
	v_cndmask_b32_e64 v0, 0, 1, vcc_lo
	v_cmp_ne_u32_e32 vcc_lo, 0, v7
	v_lshrrev_b32_e32 v3, 2, v3
	v_cmp_lt_i32_e64 s1, 5, v12
	v_cmp_eq_u32_e64 s2, 3, v12
	s_wait_alu 0xfffd
	v_cndmask_b32_e64 v7, 0, 1, vcc_lo
	v_cmp_lt_i32_e32 vcc_lo, 5, v11
	v_lshl_or_b32 v0, v0, 9, 0x7c00
	s_delay_alu instid0(VALU_DEP_3)
	v_lshl_or_b32 v7, v7, 9, 0x7c00
	s_or_b32 vcc_lo, s0, vcc_lo
	s_wait_alu 0xfffe
	v_add_co_ci_u32_e32 v9, vcc_lo, 0, v9, vcc_lo
	s_or_b32 vcc_lo, s2, s1
	s_wait_alu 0xfffe
	v_add_co_ci_u32_e32 v3, vcc_lo, 0, v3, vcc_lo
	v_cmp_gt_i32_e32 vcc_lo, 31, v5
	s_wait_alu 0xfffd
	v_cndmask_b32_e32 v9, 0x7c00, v9, vcc_lo
	v_cmp_gt_i32_e32 vcc_lo, 31, v10
	s_wait_alu 0xfffd
	v_cndmask_b32_e32 v3, 0x7c00, v3, vcc_lo
	v_cmp_eq_u32_e32 vcc_lo, 0x40f, v5
	v_lshrrev_b32_e32 v5, 16, v8
	s_wait_alu 0xfffd
	v_cndmask_b32_e32 v0, v9, v0, vcc_lo
	v_cmp_eq_u32_e32 vcc_lo, 0x40f, v10
	s_delay_alu instid0(VALU_DEP_2) | instskip(SKIP_2) | instid1(VALU_DEP_1)
	v_and_or_b32 v0, 0x8000, v6, v0
	s_wait_alu 0xfffd
	v_cndmask_b32_e32 v3, v3, v7, vcc_lo
	v_and_or_b32 v3, 0x8000, v5, v3
	s_delay_alu instid0(VALU_DEP_3) | instskip(SKIP_3) | instid1(VALU_DEP_3)
	v_and_b32_e32 v5, 0xffff, v0
	v_add_co_u32 v0, vcc_lo, v1, s4
	s_wait_alu 0xfffd
	v_add_co_ci_u32_e32 v1, vcc_lo, s5, v2, vcc_lo
	v_lshl_or_b32 v2, v3, 16, v5
	v_lshrrev_b32_e32 v3, 16, v4
	global_store_b32 v[0:1], v2, off
	global_load_b32 v2, v43, s[12:13] offset:4032
	s_wait_loadcnt 0x0
	v_lshrrev_b32_e32 v5, 16, v2
	s_delay_alu instid0(VALU_DEP_1) | instskip(SKIP_1) | instid1(VALU_DEP_2)
	v_mul_f16_e32 v6, v3, v5
	v_mul_f16_e32 v5, v4, v5
	v_fmac_f16_e32 v6, v4, v2
	s_delay_alu instid0(VALU_DEP_2) | instskip(NEXT) | instid1(VALU_DEP_2)
	v_fma_f16 v2, v2, v3, -v5
	v_cvt_f32_f16_e32 v3, v6
	s_delay_alu instid0(VALU_DEP_2) | instskip(NEXT) | instid1(VALU_DEP_2)
	v_cvt_f32_f16_e32 v4, v2
	v_cvt_f64_f32_e32 v[2:3], v3
	s_delay_alu instid0(VALU_DEP_2) | instskip(NEXT) | instid1(VALU_DEP_2)
	v_cvt_f64_f32_e32 v[4:5], v4
	v_mul_f64_e32 v[2:3], s[8:9], v[2:3]
	s_delay_alu instid0(VALU_DEP_2) | instskip(NEXT) | instid1(VALU_DEP_2)
	v_mul_f64_e32 v[4:5], s[8:9], v[4:5]
	v_and_or_b32 v2, 0x1ff, v3, v2
	s_delay_alu instid0(VALU_DEP_2)
	v_and_or_b32 v4, 0x1ff, v5, v4
	v_lshrrev_b32_e32 v6, 8, v3
	v_bfe_u32 v7, v3, 20, 11
	v_lshrrev_b32_e32 v8, 8, v5
	v_cmp_ne_u32_e32 vcc_lo, 0, v2
	v_bfe_u32 v9, v5, 20, 11
	v_lshrrev_b32_e32 v3, 16, v3
	v_sub_nc_u32_e32 v10, 0x3f1, v7
	v_add_nc_u32_e32 v7, 0xfffffc10, v7
	s_wait_alu 0xfffd
	v_cndmask_b32_e64 v2, 0, 1, vcc_lo
	v_cmp_ne_u32_e32 vcc_lo, 0, v4
	v_lshrrev_b32_e32 v5, 16, v5
	s_delay_alu instid0(VALU_DEP_3) | instskip(SKIP_4) | instid1(VALU_DEP_3)
	v_and_or_b32 v2, 0xffe, v6, v2
	s_wait_alu 0xfffd
	v_cndmask_b32_e64 v4, 0, 1, vcc_lo
	v_sub_nc_u32_e32 v6, 0x3f1, v9
	v_add_nc_u32_e32 v9, 0xfffffc10, v9
	v_and_or_b32 v4, 0xffe, v8, v4
	v_med3_i32 v8, v10, 0, 13
	v_or_b32_e32 v10, 0x1000, v2
	v_med3_i32 v6, v6, 0, 13
	s_delay_alu instid0(VALU_DEP_4) | instskip(NEXT) | instid1(VALU_DEP_3)
	v_or_b32_e32 v11, 0x1000, v4
	v_lshrrev_b32_e32 v12, v8, v10
	s_delay_alu instid0(VALU_DEP_2) | instskip(NEXT) | instid1(VALU_DEP_2)
	v_lshrrev_b32_e32 v13, v6, v11
	v_lshlrev_b32_e32 v8, v8, v12
	s_delay_alu instid0(VALU_DEP_2) | instskip(NEXT) | instid1(VALU_DEP_2)
	v_lshlrev_b32_e32 v6, v6, v13
	v_cmp_ne_u32_e32 vcc_lo, v8, v10
	v_lshl_or_b32 v10, v7, 12, v2
	s_wait_alu 0xfffd
	v_cndmask_b32_e64 v8, 0, 1, vcc_lo
	v_cmp_ne_u32_e32 vcc_lo, v6, v11
	v_lshl_or_b32 v11, v9, 12, v4
	s_delay_alu instid0(VALU_DEP_3) | instskip(SKIP_3) | instid1(VALU_DEP_2)
	v_or_b32_e32 v8, v12, v8
	s_wait_alu 0xfffd
	v_cndmask_b32_e64 v6, 0, 1, vcc_lo
	v_cmp_gt_i32_e32 vcc_lo, 1, v7
	v_or_b32_e32 v6, v13, v6
	s_wait_alu 0xfffd
	v_cndmask_b32_e32 v8, v10, v8, vcc_lo
	v_cmp_gt_i32_e32 vcc_lo, 1, v9
	s_delay_alu instid0(VALU_DEP_2)
	v_and_b32_e32 v10, 7, v8
	s_wait_alu 0xfffd
	v_cndmask_b32_e32 v6, v11, v6, vcc_lo
	v_cmp_ne_u32_e32 vcc_lo, 0, v2
	v_lshrrev_b32_e32 v8, 2, v8
	v_cmp_eq_u32_e64 s0, 3, v10
	s_delay_alu instid0(VALU_DEP_4)
	v_and_b32_e32 v11, 7, v6
	s_wait_alu 0xfffd
	v_cndmask_b32_e64 v2, 0, 1, vcc_lo
	v_cmp_ne_u32_e32 vcc_lo, 0, v4
	v_lshrrev_b32_e32 v6, 2, v6
	v_cmp_lt_i32_e64 s1, 5, v11
	v_cmp_eq_u32_e64 s2, 3, v11
	s_wait_alu 0xfffd
	v_cndmask_b32_e64 v4, 0, 1, vcc_lo
	v_cmp_lt_i32_e32 vcc_lo, 5, v10
	v_lshl_or_b32 v2, v2, 9, 0x7c00
	s_delay_alu instid0(VALU_DEP_3)
	v_lshl_or_b32 v4, v4, 9, 0x7c00
	s_or_b32 vcc_lo, s0, vcc_lo
	s_wait_alu 0xfffe
	v_add_co_ci_u32_e32 v8, vcc_lo, 0, v8, vcc_lo
	s_or_b32 vcc_lo, s2, s1
	s_wait_alu 0xfffe
	v_add_co_ci_u32_e32 v6, vcc_lo, 0, v6, vcc_lo
	v_cmp_gt_i32_e32 vcc_lo, 31, v7
	s_wait_alu 0xfffd
	v_cndmask_b32_e32 v8, 0x7c00, v8, vcc_lo
	v_cmp_gt_i32_e32 vcc_lo, 31, v9
	s_wait_alu 0xfffd
	v_cndmask_b32_e32 v6, 0x7c00, v6, vcc_lo
	v_cmp_eq_u32_e32 vcc_lo, 0x40f, v7
	s_wait_alu 0xfffd
	v_cndmask_b32_e32 v2, v8, v2, vcc_lo
	v_cmp_eq_u32_e32 vcc_lo, 0x40f, v9
	s_delay_alu instid0(VALU_DEP_2)
	v_and_or_b32 v2, 0x8000, v3, v2
	s_wait_alu 0xfffd
	v_cndmask_b32_e32 v4, v6, v4, vcc_lo
	v_add_co_u32 v0, vcc_lo, v0, s4
	s_wait_alu 0xfffd
	v_add_co_ci_u32_e32 v1, vcc_lo, s5, v1, vcc_lo
	s_delay_alu instid0(VALU_DEP_3) | instskip(SKIP_1) | instid1(VALU_DEP_1)
	v_and_or_b32 v3, 0x8000, v5, v4
	v_and_b32_e32 v2, 0xffff, v2
	v_lshl_or_b32 v2, v3, 16, v2
	global_store_b32 v[0:1], v2, off
.LBB0_23:
	s_nop 0
	s_sendmsg sendmsg(MSG_DEALLOC_VGPRS)
	s_endpgm
	.section	.rodata,"a",@progbits
	.p2align	6, 0x0
	.amdhsa_kernel bluestein_single_fwd_len1071_dim1_half_op_CI_CI
		.amdhsa_group_segment_fixed_size 4284
		.amdhsa_private_segment_fixed_size 0
		.amdhsa_kernarg_size 104
		.amdhsa_user_sgpr_count 2
		.amdhsa_user_sgpr_dispatch_ptr 0
		.amdhsa_user_sgpr_queue_ptr 0
		.amdhsa_user_sgpr_kernarg_segment_ptr 1
		.amdhsa_user_sgpr_dispatch_id 0
		.amdhsa_user_sgpr_private_segment_size 0
		.amdhsa_wavefront_size32 1
		.amdhsa_uses_dynamic_stack 0
		.amdhsa_enable_private_segment 0
		.amdhsa_system_sgpr_workgroup_id_x 1
		.amdhsa_system_sgpr_workgroup_id_y 0
		.amdhsa_system_sgpr_workgroup_id_z 0
		.amdhsa_system_sgpr_workgroup_info 0
		.amdhsa_system_vgpr_workitem_id 0
		.amdhsa_next_free_vgpr 213
		.amdhsa_next_free_sgpr 16
		.amdhsa_reserve_vcc 1
		.amdhsa_float_round_mode_32 0
		.amdhsa_float_round_mode_16_64 0
		.amdhsa_float_denorm_mode_32 3
		.amdhsa_float_denorm_mode_16_64 3
		.amdhsa_fp16_overflow 0
		.amdhsa_workgroup_processor_mode 1
		.amdhsa_memory_ordered 1
		.amdhsa_forward_progress 0
		.amdhsa_round_robin_scheduling 0
		.amdhsa_exception_fp_ieee_invalid_op 0
		.amdhsa_exception_fp_denorm_src 0
		.amdhsa_exception_fp_ieee_div_zero 0
		.amdhsa_exception_fp_ieee_overflow 0
		.amdhsa_exception_fp_ieee_underflow 0
		.amdhsa_exception_fp_ieee_inexact 0
		.amdhsa_exception_int_div_zero 0
	.end_amdhsa_kernel
	.text
.Lfunc_end0:
	.size	bluestein_single_fwd_len1071_dim1_half_op_CI_CI, .Lfunc_end0-bluestein_single_fwd_len1071_dim1_half_op_CI_CI
                                        ; -- End function
	.section	.AMDGPU.csdata,"",@progbits
; Kernel info:
; codeLenInByte = 33708
; NumSgprs: 18
; NumVgprs: 213
; ScratchSize: 0
; MemoryBound: 0
; FloatMode: 240
; IeeeMode: 1
; LDSByteSize: 4284 bytes/workgroup (compile time only)
; SGPRBlocks: 2
; VGPRBlocks: 26
; NumSGPRsForWavesPerEU: 18
; NumVGPRsForWavesPerEU: 213
; Occupancy: 7
; WaveLimiterHint : 1
; COMPUTE_PGM_RSRC2:SCRATCH_EN: 0
; COMPUTE_PGM_RSRC2:USER_SGPR: 2
; COMPUTE_PGM_RSRC2:TRAP_HANDLER: 0
; COMPUTE_PGM_RSRC2:TGID_X_EN: 1
; COMPUTE_PGM_RSRC2:TGID_Y_EN: 0
; COMPUTE_PGM_RSRC2:TGID_Z_EN: 0
; COMPUTE_PGM_RSRC2:TIDIG_COMP_CNT: 0
	.text
	.p2alignl 7, 3214868480
	.fill 96, 4, 3214868480
	.type	__hip_cuid_e29cc6d8ae34550,@object ; @__hip_cuid_e29cc6d8ae34550
	.section	.bss,"aw",@nobits
	.globl	__hip_cuid_e29cc6d8ae34550
__hip_cuid_e29cc6d8ae34550:
	.byte	0                               ; 0x0
	.size	__hip_cuid_e29cc6d8ae34550, 1

	.ident	"AMD clang version 19.0.0git (https://github.com/RadeonOpenCompute/llvm-project roc-6.4.0 25133 c7fe45cf4b819c5991fe208aaa96edf142730f1d)"
	.section	".note.GNU-stack","",@progbits
	.addrsig
	.addrsig_sym __hip_cuid_e29cc6d8ae34550
	.amdgpu_metadata
---
amdhsa.kernels:
  - .args:
      - .actual_access:  read_only
        .address_space:  global
        .offset:         0
        .size:           8
        .value_kind:     global_buffer
      - .actual_access:  read_only
        .address_space:  global
        .offset:         8
        .size:           8
        .value_kind:     global_buffer
      - .actual_access:  read_only
        .address_space:  global
        .offset:         16
        .size:           8
        .value_kind:     global_buffer
      - .actual_access:  read_only
        .address_space:  global
        .offset:         24
        .size:           8
        .value_kind:     global_buffer
      - .actual_access:  read_only
        .address_space:  global
        .offset:         32
        .size:           8
        .value_kind:     global_buffer
      - .offset:         40
        .size:           8
        .value_kind:     by_value
      - .address_space:  global
        .offset:         48
        .size:           8
        .value_kind:     global_buffer
      - .address_space:  global
        .offset:         56
        .size:           8
        .value_kind:     global_buffer
      - .address_space:  global
        .offset:         64
        .size:           8
        .value_kind:     global_buffer
      - .address_space:  global
        .offset:         72
        .size:           8
        .value_kind:     global_buffer
      - .offset:         80
        .size:           4
        .value_kind:     by_value
      - .address_space:  global
        .offset:         88
        .size:           8
        .value_kind:     global_buffer
      - .address_space:  global
        .offset:         96
        .size:           8
        .value_kind:     global_buffer
    .group_segment_fixed_size: 4284
    .kernarg_segment_align: 8
    .kernarg_segment_size: 104
    .language:       OpenCL C
    .language_version:
      - 2
      - 0
    .max_flat_workgroup_size: 119
    .name:           bluestein_single_fwd_len1071_dim1_half_op_CI_CI
    .private_segment_fixed_size: 0
    .sgpr_count:     18
    .sgpr_spill_count: 0
    .symbol:         bluestein_single_fwd_len1071_dim1_half_op_CI_CI.kd
    .uniform_work_group_size: 1
    .uses_dynamic_stack: false
    .vgpr_count:     213
    .vgpr_spill_count: 0
    .wavefront_size: 32
    .workgroup_processor_mode: 1
amdhsa.target:   amdgcn-amd-amdhsa--gfx1201
amdhsa.version:
  - 1
  - 2
...

	.end_amdgpu_metadata
